;; amdgpu-corpus repo=ROCm/rocFFT kind=compiled arch=gfx906 opt=O3
	.text
	.amdgcn_target "amdgcn-amd-amdhsa--gfx906"
	.amdhsa_code_object_version 6
	.protected	bluestein_single_fwd_len891_dim1_half_op_CI_CI ; -- Begin function bluestein_single_fwd_len891_dim1_half_op_CI_CI
	.globl	bluestein_single_fwd_len891_dim1_half_op_CI_CI
	.p2align	8
	.type	bluestein_single_fwd_len891_dim1_half_op_CI_CI,@function
bluestein_single_fwd_len891_dim1_half_op_CI_CI: ; @bluestein_single_fwd_len891_dim1_half_op_CI_CI
; %bb.0:
	s_load_dwordx4 s[8:11], s[4:5], 0x28
	v_mul_u32_u24_e32 v1, 0x296, v0
	v_lshrrev_b32_e32 v1, 16, v1
	v_lshl_add_u32 v8, s6, 1, v1
	v_mov_b32_e32 v9, 0
	s_waitcnt lgkmcnt(0)
	v_cmp_gt_u64_e32 vcc, s[8:9], v[8:9]
	s_and_saveexec_b64 s[0:1], vcc
	s_cbranch_execz .LBB0_10
; %bb.1:
	s_load_dwordx4 s[0:3], s[4:5], 0x18
	s_load_dwordx4 s[12:15], s[4:5], 0x0
	v_mul_lo_u16_e32 v2, 0x63, v1
	v_sub_u16_e32 v41, v0, v2
	v_lshlrev_b32_e32 v24, 2, v41
	s_waitcnt lgkmcnt(0)
	s_load_dwordx4 s[16:19], s[0:1], 0x0
	global_load_dword v42, v24, s[12:13]
	s_movk_i32 s6, 0x3579
	s_mov_b32 s7, 0xbb84
                                        ; implicit-def: $vgpr51
                                        ; implicit-def: $vgpr50
                                        ; implicit-def: $vgpr54
	s_waitcnt lgkmcnt(0)
	v_mad_u64_u32 v[2:3], s[0:1], s18, v8, 0
	v_mad_u64_u32 v[4:5], s[0:1], s16, v41, 0
	v_mov_b32_e32 v0, v3
	v_mov_b32_e32 v3, v5
	v_mad_u64_u32 v[5:6], s[0:1], s19, v8, v[0:1]
	v_mad_u64_u32 v[6:7], s[0:1], s17, v41, v[3:4]
	v_mov_b32_e32 v3, v5
	v_lshlrev_b64 v[2:3], 2, v[2:3]
	v_mov_b32_e32 v0, s11
	v_mov_b32_e32 v5, v6
	v_add_co_u32_e32 v6, vcc, s10, v2
	v_addc_co_u32_e32 v0, vcc, v0, v3, vcc
	v_lshlrev_b64 v[2:3], 2, v[4:5]
	s_mul_i32 s0, s17, 0x18c
	v_add_co_u32_e32 v2, vcc, v6, v2
	s_mul_hi_u32 s1, s16, 0x18c
	v_addc_co_u32_e32 v3, vcc, v0, v3, vcc
	s_add_i32 s0, s1, s0
	s_mul_i32 s1, s16, 0x18c
	global_load_dword v0, v[2:3], off
	v_mov_b32_e32 v4, s0
	v_add_co_u32_e32 v2, vcc, s1, v2
	v_addc_co_u32_e32 v3, vcc, v3, v4, vcc
	global_load_dword v4, v[2:3], off
	global_load_dword v40, v24, s[12:13] offset:396
	global_load_dword v39, v24, s[12:13] offset:792
	v_mov_b32_e32 v5, s0
	v_add_co_u32_e32 v2, vcc, s1, v2
	v_addc_co_u32_e32 v3, vcc, v3, v5, vcc
	global_load_dword v5, v[2:3], off
	v_mov_b32_e32 v6, s0
	v_add_co_u32_e32 v2, vcc, s1, v2
	v_addc_co_u32_e32 v3, vcc, v3, v6, vcc
	global_load_dword v6, v[2:3], off
	global_load_dword v38, v24, s[12:13] offset:1188
	global_load_dword v37, v24, s[12:13] offset:1584
	v_mov_b32_e32 v7, s0
	v_add_co_u32_e32 v2, vcc, s1, v2
	v_addc_co_u32_e32 v3, vcc, v3, v7, vcc
	global_load_dword v7, v[2:3], off
	v_mov_b32_e32 v9, s0
	v_add_co_u32_e32 v2, vcc, s1, v2
	v_addc_co_u32_e32 v3, vcc, v3, v9, vcc
	global_load_dword v9, v[2:3], off
	global_load_dword v36, v24, s[12:13] offset:1980
	v_mov_b32_e32 v10, s0
	v_add_co_u32_e32 v2, vcc, s1, v2
	v_addc_co_u32_e32 v3, vcc, v3, v10, vcc
	global_load_dword v10, v[2:3], off
	global_load_dword v35, v24, s[12:13] offset:2376
	;; [unrolled: 5-line block ×4, first 2 shown]
	v_and_b32_e32 v1, 1, v1
	v_mov_b32_e32 v2, 0x37b
	v_cmp_eq_u32_e32 vcc, 1, v1
	v_cndmask_b32_e32 v1, 0, v2, vcc
	v_lshlrev_b32_e32 v43, 2, v1
	v_add_u32_e32 v33, v43, v24
	s_load_dwordx4 s[8:11], s[2:3], 0x0
	s_movk_i32 s0, 0x3a21
	s_mov_b32 s16, 0xb924
	s_movk_i32 s1, 0x318f
	s_movk_i32 s3, 0x3be1
	s_movk_i32 s2, 0x3aee
	s_mov_b32 s17, 0xffff
	s_waitcnt vmcnt(16)
	v_lshrrev_b32_e32 v1, 16, v0
	v_mul_f16_sdwa v2, v42, v0 dst_sel:DWORD dst_unused:UNUSED_PAD src0_sel:WORD_1 src1_sel:DWORD
	v_fma_f16 v2, v42, v1, -v2
	v_mul_f16_sdwa v1, v42, v1 dst_sel:DWORD dst_unused:UNUSED_PAD src0_sel:WORD_1 src1_sel:DWORD
	s_waitcnt vmcnt(15)
	v_lshrrev_b32_e32 v3, 16, v4
	s_waitcnt vmcnt(14)
	v_mul_f16_sdwa v13, v40, v4 dst_sel:DWORD dst_unused:UNUSED_PAD src0_sel:WORD_1 src1_sel:DWORD
	v_fma_f16 v0, v42, v0, v1
	v_fma_f16 v1, v40, v3, -v13
	v_mul_f16_sdwa v3, v40, v3 dst_sel:DWORD dst_unused:UNUSED_PAD src0_sel:WORD_1 src1_sel:DWORD
	v_pack_b32_f16 v0, v0, v2
	v_fma_f16 v2, v40, v4, v3
	v_pack_b32_f16 v1, v2, v1
	ds_write2_b32 v33, v0, v1 offset1:99
	s_waitcnt vmcnt(12)
	v_lshrrev_b32_e32 v0, 16, v5
	v_mul_f16_sdwa v1, v39, v0 dst_sel:DWORD dst_unused:UNUSED_PAD src0_sel:WORD_1 src1_sel:DWORD
	v_mul_f16_sdwa v2, v39, v5 dst_sel:DWORD dst_unused:UNUSED_PAD src0_sel:WORD_1 src1_sel:DWORD
	v_fma_f16 v1, v39, v5, v1
	v_fma_f16 v0, v39, v0, -v2
	v_pack_b32_f16 v0, v1, v0
	s_waitcnt vmcnt(11)
	v_lshrrev_b32_e32 v1, 16, v6
	s_waitcnt vmcnt(10)
	v_mul_f16_sdwa v2, v38, v1 dst_sel:DWORD dst_unused:UNUSED_PAD src0_sel:WORD_1 src1_sel:DWORD
	v_mul_f16_sdwa v3, v38, v6 dst_sel:DWORD dst_unused:UNUSED_PAD src0_sel:WORD_1 src1_sel:DWORD
	v_fma_f16 v2, v38, v6, v2
	v_fma_f16 v1, v38, v1, -v3
	v_pack_b32_f16 v1, v2, v1
	v_add_u32_e32 v2, 0x200, v33
	ds_write2_b32 v2, v0, v1 offset0:70 offset1:169
	s_waitcnt vmcnt(8)
	v_lshrrev_b32_e32 v0, 16, v7
	v_mul_f16_sdwa v1, v37, v0 dst_sel:DWORD dst_unused:UNUSED_PAD src0_sel:WORD_1 src1_sel:DWORD
	v_mul_f16_sdwa v3, v37, v7 dst_sel:DWORD dst_unused:UNUSED_PAD src0_sel:WORD_1 src1_sel:DWORD
	v_fma_f16 v1, v37, v7, v1
	v_fma_f16 v0, v37, v0, -v3
	v_pack_b32_f16 v0, v1, v0
	s_waitcnt vmcnt(7)
	v_lshrrev_b32_e32 v1, 16, v9
	s_waitcnt vmcnt(6)
	v_mul_f16_sdwa v3, v36, v1 dst_sel:DWORD dst_unused:UNUSED_PAD src0_sel:WORD_1 src1_sel:DWORD
	v_mul_f16_sdwa v4, v36, v9 dst_sel:DWORD dst_unused:UNUSED_PAD src0_sel:WORD_1 src1_sel:DWORD
	v_fma_f16 v3, v36, v9, v3
	v_fma_f16 v1, v36, v1, -v4
	v_pack_b32_f16 v3, v3, v1
	v_add_u32_e32 v1, 0x400, v33
	ds_write2_b32 v1, v0, v3 offset0:140 offset1:239
	s_waitcnt vmcnt(5)
	v_lshrrev_b32_e32 v0, 16, v10
	s_waitcnt vmcnt(4)
	v_mul_f16_sdwa v3, v35, v0 dst_sel:DWORD dst_unused:UNUSED_PAD src0_sel:WORD_1 src1_sel:DWORD
	v_mul_f16_sdwa v4, v35, v10 dst_sel:DWORD dst_unused:UNUSED_PAD src0_sel:WORD_1 src1_sel:DWORD
	v_fma_f16 v3, v35, v10, v3
	v_fma_f16 v0, v35, v0, -v4
	v_pack_b32_f16 v3, v3, v0
	s_waitcnt vmcnt(3)
	v_lshrrev_b32_e32 v0, 16, v11
	s_waitcnt vmcnt(2)
	v_mul_f16_sdwa v4, v34, v0 dst_sel:DWORD dst_unused:UNUSED_PAD src0_sel:WORD_1 src1_sel:DWORD
	v_mul_f16_sdwa v5, v34, v11 dst_sel:DWORD dst_unused:UNUSED_PAD src0_sel:WORD_1 src1_sel:DWORD
	v_fma_f16 v4, v34, v11, v4
	v_fma_f16 v0, v34, v0, -v5
	v_pack_b32_f16 v4, v4, v0
	v_add_u32_e32 v0, 0x800, v33
	ds_write2_b32 v0, v3, v4 offset0:82 offset1:181
	s_waitcnt vmcnt(1)
	v_lshrrev_b32_e32 v3, 16, v12
	s_waitcnt vmcnt(0)
	v_mul_f16_sdwa v4, v32, v3 dst_sel:DWORD dst_unused:UNUSED_PAD src0_sel:WORD_1 src1_sel:DWORD
	v_mul_f16_sdwa v5, v32, v12 dst_sel:DWORD dst_unused:UNUSED_PAD src0_sel:WORD_1 src1_sel:DWORD
	v_fma_f16 v4, v32, v12, v4
	v_fma_f16 v3, v32, v3, -v5
	v_pack_b32_f16 v3, v4, v3
	ds_write_b32 v33, v3 offset:3168
	s_waitcnt lgkmcnt(0)
	s_barrier
	ds_read2_b32 v[2:3], v2 offset0:70 offset1:169
	ds_read2_b32 v[4:5], v0 offset0:82 offset1:181
	ds_read2_b32 v[6:7], v33 offset1:99
	ds_read_b32 v12, v33 offset:3168
	ds_read2_b32 v[9:10], v1 offset0:140 offset1:239
	s_waitcnt lgkmcnt(0)
	s_barrier
	v_pk_add_f16 v11, v2, v5
	v_pk_add_f16 v15, v3, v4
	v_pk_add_f16 v3, v3, v4 neg_lo:[0,1] neg_hi:[0,1]
	v_pk_add_f16 v4, v7, v12
	v_pk_add_f16 v2, v2, v5 neg_lo:[0,1] neg_hi:[0,1]
	v_pk_add_f16 v5, v11, v4
	v_pk_add_f16 v13, v15, v5
	;; [unrolled: 1-line block ×3, first 2 shown]
	v_pk_add_f16 v20, v9, v10 neg_lo:[0,1] neg_hi:[0,1]
	v_pk_add_f16 v9, v9, v10
	v_pk_add_f16 v19, v10, v13
	;; [unrolled: 1-line block ×4, first 2 shown]
	v_pk_fma_f16 v5, v5, 0.5, v10 op_sel_hi:[1,0,1] neg_lo:[1,0,0] neg_hi:[1,0,0]
	v_mul_lo_u16_e32 v10, 9, v41
	v_lshl_add_u32 v46, v10, 2, v43
	v_pk_add_f16 v7, v7, v12 neg_lo:[0,1] neg_hi:[0,1]
	v_pk_mul_f16 v10, v20, s16 op_sel_hi:[1,0]
	v_pk_fma_f16 v12, v9, s0, v6 op_sel_hi:[1,0,1]
	v_pk_fma_f16 v10, v7, s3, v10 op_sel_hi:[1,0,1]
	;; [unrolled: 1-line block ×3, first 2 shown]
	v_pk_add_f16 v13, v20, v7
	v_pk_fma_f16 v10, v3, s2, v10 op_sel_hi:[1,0,1] neg_lo:[1,0,0] neg_hi:[1,0,0]
	v_pk_fma_f16 v12, v15, 0.5, v12 op_sel_hi:[1,0,1] neg_lo:[1,0,0] neg_hi:[1,0,0]
	v_pk_add_f16 v13, v13, v2 neg_lo:[0,1] neg_hi:[0,1]
	v_pk_fma_f16 v10, v2, s6, v10 op_sel_hi:[1,0,1]
	v_pk_fma_f16 v12, v11, s7, v12 op_sel_hi:[1,0,1]
	v_pk_mul_f16 v21, v13, s2 op_sel_hi:[1,0]
	v_pk_add_f16 v22, v12, v10 op_sel:[0,1] op_sel_hi:[1,0] neg_lo:[0,1] neg_hi:[0,1]
	v_pk_add_f16 v13, v12, v10 op_sel:[0,1] op_sel_hi:[1,0]
	v_pk_add_f16 v14, v5, v21 op_sel:[0,1] op_sel_hi:[1,0]
	v_pk_add_f16 v5, v5, v21 op_sel:[0,1] op_sel_hi:[1,0] neg_lo:[0,1] neg_hi:[0,1]
	v_bfi_b32 v12, s17, v13, v22
	v_bfi_b32 v16, s17, v14, v5
	v_lshrrev_b32_e32 v27, 16, v20
	ds_write2_b32 v46, v12, v16 offset0:2 offset1:3
	v_pk_mul_f16 v12, v15, 0.5 op_sel_hi:[1,0]
	v_lshrrev_b32_e32 v25, 16, v2
	v_mul_f16_e32 v15, 0x3be1, v27
	v_pk_mul_f16 v3, v3, s2 op_sel_hi:[1,0]
	v_fma_f16 v15, v25, s16, -v15
	v_add_f16_sdwa v15, v3, v15 dst_sel:DWORD dst_unused:UNUSED_PAD src0_sel:WORD_1 src1_sel:DWORD
	v_lshrrev_b32_e32 v28, 16, v7
	v_lshrrev_b32_e32 v30, 16, v6
	;; [unrolled: 1-line block ×3, first 2 shown]
	v_fma_f16 v16, v28, s6, v15
	v_fma_f16 v15, v11, s0, v6
	v_mul_f16_e32 v17, 0x3be1, v20
	v_fma_f16 v18, v44, s0, v30
	v_lshrrev_b32_e32 v45, 16, v9
	v_fma_f16 v15, v9, s1, v15
	v_fma_f16 v17, v2, s16, -v17
	v_fma_f16 v18, v45, s1, v18
	v_sub_f16_e32 v15, v15, v12
	v_add_f16_e32 v17, v3, v17
	v_sub_f16_sdwa v18, v18, v12 dst_sel:DWORD dst_unused:UNUSED_PAD src0_sel:DWORD src1_sel:WORD_1
	v_lshrrev_b32_e32 v49, 16, v4
	v_fma_f16 v15, v4, s7, v15
	v_fma_f16 v17, v7, s6, v17
	;; [unrolled: 1-line block ×3, first 2 shown]
	v_add_f16_e32 v15, v16, v15
	v_sub_f16_e32 v23, v18, v17
	v_fma_f16 v16, v16, -2.0, v15
	v_fma_f16 v31, v17, 2.0, v23
	v_pack_b32_f16 v17, v15, v23
	v_pack_b32_f16 v18, v16, v31
	ds_write2_b32 v46, v17, v18 offset0:4 offset1:5
	v_lshrrev_b32_e32 v17, 16, v10
	v_fma_f16 v18, v17, -2.0, v13
	v_lshrrev_b32_e32 v17, 16, v21
	v_lshrrev_b32_e32 v26, 16, v22
	;; [unrolled: 1-line block ×3, first 2 shown]
	v_fma_f16 v17, v17, -2.0, v14
	v_fma_f16 v48, v10, 2.0, v26
	v_fma_f16 v47, v21, 2.0, v29
	v_pack_b32_f16 v5, v17, v47
	v_pack_b32_f16 v10, v18, v48
	v_fma_f16 v4, v4, s0, v6
	ds_write2_b32 v46, v5, v10 offset0:6 offset1:7
	v_mov_b32_e32 v5, s13
	v_add_co_u32_e32 v21, vcc, s12, v24
	v_fma_f16 v4, v11, s1, v4
	v_pk_add_f16 v11, v19, v6
	v_mul_f16_e32 v6, 0x3924, v7
	v_addc_co_u32_e32 v22, vcc, 0, v5, vcc
	v_fma_f16 v5, v49, s0, v30
	v_fma_f16 v2, v2, s3, v6
	v_mul_f16_e32 v6, 0x3924, v28
	v_fma_f16 v5, v44, s1, v5
	v_fma_f16 v6, v25, s3, v6
	v_add_f16_e32 v2, v3, v2
	v_add_f16_sdwa v3, v3, v6 dst_sel:DWORD dst_unused:UNUSED_PAD src0_sel:WORD_1 src1_sel:DWORD
	v_sub_f16_e32 v4, v4, v12
	v_sub_f16_sdwa v5, v5, v12 dst_sel:DWORD dst_unused:UNUSED_PAD src0_sel:DWORD src1_sel:WORD_1
	s_load_dwordx2 s[2:3], s[4:5], 0x38
	v_fma_f16 v2, v20, s6, v2
	v_fma_f16 v3, v27, s6, v3
	;; [unrolled: 1-line block ×4, first 2 shown]
	v_add_f16_e32 v12, v3, v4
	v_sub_f16_e32 v27, v5, v2
	v_fma_f16 v49, v2, 2.0, v27
	v_fma_f16 v19, v3, -2.0, v12
	s_movk_i32 s0, 0x51
	v_pack_b32_f16 v4, v12, v27
	v_pack_b32_f16 v2, v19, v49
	v_cmp_gt_u16_e64 s[0:1], s0, v41
	ds_write2_b32 v46, v11, v4 offset1:1
	ds_write_b32 v46, v2 offset:32
	s_waitcnt lgkmcnt(0)
	s_barrier
	s_and_saveexec_b64 s[4:5], s[0:1]
	s_cbranch_execz .LBB0_3
; %bb.2:
	ds_read2_b32 v[11:12], v33 offset1:81
	ds_read2_b32 v[13:14], v33 offset0:162 offset1:243
	ds_read2_b32 v[15:16], v1 offset0:68 offset1:149
	v_add_u32_e32 v1, 0x600, v33
	ds_read2_b32 v[17:18], v1 offset0:102 offset1:183
	ds_read2_b32 v[19:20], v0 offset0:136 offset1:217
	ds_read_b32 v50, v33 offset:3240
	s_waitcnt lgkmcnt(5)
	v_lshrrev_b32_e32 v27, 16, v12
	s_waitcnt lgkmcnt(4)
	v_lshrrev_b32_e32 v26, 16, v13
	v_lshrrev_b32_e32 v29, 16, v14
	s_waitcnt lgkmcnt(3)
	v_lshrrev_b32_e32 v23, 16, v15
	;; [unrolled: 3-line block ×5, first 2 shown]
.LBB0_3:
	s_or_b64 exec, exec, s[4:5]
	v_mov_b32_e32 v0, 57
	v_mul_lo_u16_sdwa v0, v41, v0 dst_sel:DWORD dst_unused:UNUSED_PAD src0_sel:BYTE_0 src1_sel:DWORD
	v_lshrrev_b16_e32 v44, 9, v0
	v_mul_lo_u16_e32 v0, 9, v44
	v_sub_u16_e32 v45, v41, v0
	v_mov_b32_e32 v0, 10
	v_mul_u32_u24_sdwa v0, v45, v0 dst_sel:DWORD dst_unused:UNUSED_PAD src0_sel:BYTE_0 src1_sel:DWORD
	v_lshlrev_b32_e32 v25, 2, v0
	global_load_dwordx4 v[0:3], v25, s[14:15]
	global_load_dwordx4 v[4:7], v25, s[14:15] offset:16
	global_load_dwordx2 v[9:10], v25, s[14:15] offset:32
	s_movk_i32 s6, 0x3abb
	s_movk_i32 s7, 0x36a6
	s_mov_b32 s16, 0xb93d
	s_mov_b32 s17, 0xb08e
	;; [unrolled: 1-line block ×7, first 2 shown]
	s_movk_i32 s21, 0x3482
	s_movk_i32 s24, 0x3beb
	s_mov_b32 s23, 0xb482
	s_movk_i32 s25, 0x3853
	s_waitcnt vmcnt(0)
	s_barrier
	v_mul_f16_sdwa v25, v27, v0 dst_sel:DWORD dst_unused:UNUSED_PAD src0_sel:DWORD src1_sel:WORD_1
	v_mul_f16_sdwa v28, v12, v0 dst_sel:DWORD dst_unused:UNUSED_PAD src0_sel:DWORD src1_sel:WORD_1
	;; [unrolled: 1-line block ×12, first 2 shown]
	v_fma_f16 v25, v12, v0, -v25
	v_fma_f16 v12, v27, v0, v28
	v_fma_f16 v27, v13, v1, -v30
	v_fma_f16 v13, v26, v1, v52
	v_fma_f16 v28, v14, v2, -v53
	v_fma_f16 v53, v50, v10, -v68
	v_fma_f16 v26, v54, v10, v69
	v_mul_f16_sdwa v55, v14, v2 dst_sel:DWORD dst_unused:UNUSED_PAD src0_sel:DWORD src1_sel:WORD_1
	v_mul_f16_sdwa v61, v17, v5 dst_sel:DWORD dst_unused:UNUSED_PAD src0_sel:DWORD src1_sel:WORD_1
	;; [unrolled: 1-line block ×6, first 2 shown]
	v_fma_f16 v30, v16, v4, -v58
	v_fma_f16 v16, v31, v4, v59
	v_fma_f16 v31, v17, v5, -v60
	v_fma_f16 v52, v20, v9, -v66
	v_fma_f16 v20, v51, v9, v67
	v_sub_f16_e32 v60, v25, v53
	v_sub_f16_e32 v75, v12, v26
	v_mul_f16_sdwa v56, v23, v3 dst_sel:DWORD dst_unused:UNUSED_PAD src0_sel:DWORD src1_sel:WORD_1
	v_mul_f16_sdwa v57, v15, v3 dst_sel:DWORD dst_unused:UNUSED_PAD src0_sel:DWORD src1_sel:WORD_1
	v_fma_f16 v14, v29, v2, v55
	v_fma_f16 v17, v47, v5, v61
	v_fma_f16 v47, v18, v6, -v62
	v_fma_f16 v18, v48, v6, v63
	v_fma_f16 v48, v19, v7, -v64
	v_fma_f16 v19, v49, v7, v65
	v_add_f16_e32 v54, v25, v53
	v_add_f16_e32 v81, v12, v26
	v_sub_f16_e32 v62, v27, v52
	v_sub_f16_e32 v77, v13, v20
	v_mul_f16_e32 v55, 0xb853, v75
	v_mul_f16_e32 v61, 0xb853, v60
	v_fma_f16 v29, v15, v3, -v56
	v_fma_f16 v15, v23, v3, v57
	v_add_f16_e32 v56, v27, v52
	v_add_f16_e32 v82, v13, v20
	v_sub_f16_e32 v78, v14, v19
	v_sub_f16_e32 v70, v28, v48
	v_mul_f16_e32 v65, 0xbb47, v75
	v_mul_f16_e32 v57, 0xbb47, v77
	v_mul_f16_e32 v63, 0xbb47, v62
	v_fma_f16 v23, v54, s6, v55
	v_fma_f16 v49, v81, s6, -v61
	v_add_f16_e32 v58, v28, v48
	v_add_f16_e32 v84, v14, v19
	v_mul_f16_e32 v67, 0xbb47, v60
	v_mul_f16_e32 v66, 0xba0c, v77
	v_mul_f16_e32 v59, 0xbbeb, v78
	v_mul_f16_e32 v64, 0xbbeb, v70
	v_fma_f16 v50, v54, s7, v65
	v_fma_f16 v69, v56, s7, v57
	v_fma_f16 v71, v82, s7, -v63
	v_add_f16_e32 v23, v11, v23
	v_add_f16_sdwa v49, v11, v49 dst_sel:DWORD dst_unused:UNUSED_PAD src0_sel:WORD_1 src1_sel:DWORD
	v_mul_f16_e32 v68, 0xba0c, v62
	v_fma_f16 v51, v81, s7, -v67
	v_fma_f16 v72, v56, s16, v66
	v_fma_f16 v74, v58, s17, v59
	v_add_f16_e32 v50, v11, v50
	v_add_f16_e32 v23, v69, v23
	;; [unrolled: 1-line block ×3, first 2 shown]
	v_fma_f16 v69, v84, s17, -v64
	v_mul_f16_e32 v71, 0x3482, v78
	v_fma_f16 v73, v82, s16, -v68
	v_add_f16_sdwa v51, v11, v51 dst_sel:DWORD dst_unused:UNUSED_PAD src0_sel:WORD_1 src1_sel:DWORD
	v_add_f16_e32 v50, v72, v50
	v_add_f16_e32 v23, v74, v23
	;; [unrolled: 1-line block ×3, first 2 shown]
	v_fma_f16 v69, v58, s18, v71
	v_mul_f16_e32 v74, 0x3482, v70
	v_add_f16_e32 v51, v73, v51
	v_add_f16_e32 v50, v69, v50
	v_fma_f16 v69, v84, s18, -v74
	v_sub_f16_e32 v90, v15, v18
	v_add_f16_e32 v51, v69, v51
	v_add_f16_e32 v79, v29, v47
	v_mul_f16_e32 v69, 0xba0c, v90
	v_fma_f16 v72, v79, s16, v69
	v_sub_f16_e32 v85, v29, v47
	v_add_f16_e32 v23, v72, v23
	v_add_f16_e32 v92, v15, v18
	v_mul_f16_e32 v72, 0xba0c, v85
	v_fma_f16 v73, v92, s16, -v72
	v_mul_f16_e32 v76, 0x3beb, v90
	v_add_f16_e32 v49, v73, v49
	v_fma_f16 v73, v79, s17, v76
	v_mul_f16_e32 v83, 0x3beb, v85
	v_sub_f16_e32 v91, v16, v17
	v_add_f16_e32 v94, v73, v50
	v_fma_f16 v50, v92, s17, -v83
	v_add_f16_e32 v86, v30, v31
	v_mul_f16_e32 v73, 0xb482, v91
	v_sub_f16_e32 v89, v30, v31
	v_add_f16_e32 v88, v50, v51
	v_fma_f16 v50, v86, s18, v73
	v_add_f16_e32 v93, v16, v17
	v_mul_f16_e32 v80, 0xb482, v89
	v_add_f16_e32 v50, v50, v23
	v_fma_f16 v23, v93, s18, -v80
	v_mul_f16_e32 v87, 0x3853, v89
	v_add_f16_e32 v51, v23, v49
	v_fma_f16 v23, v93, s6, -v87
	v_add_f16_e32 v49, v23, v88
	v_mul_f16_e32 v88, 0x3853, v91
	v_fma_f16 v23, v86, s6, v88
	v_add_f16_e32 v23, v23, v94
	s_and_saveexec_b64 s[4:5], s[0:1]
	s_cbranch_execz .LBB0_5
; %bb.4:
	v_mul_f16_e32 v114, 0xb08e, v81
	v_fma_f16 v115, v60, s24, v114
	v_mul_f16_e32 v116, 0xbbad, v82
	v_add_f16_sdwa v115, v11, v115 dst_sel:DWORD dst_unused:UNUSED_PAD src0_sel:WORD_1 src1_sel:DWORD
	v_fma_f16 v117, v62, s23, v116
	v_add_f16_e32 v115, v117, v115
	v_mul_f16_e32 v117, 0x36a6, v84
	v_fma_f16 v118, v70, s26, v117
	v_add_f16_e32 v115, v118, v115
	v_mul_f16_e32 v118, 0x3abb, v92
	;; [unrolled: 3-line block ×3, first 2 shown]
	s_movk_i32 s27, 0x3a0c
	v_fma_f16 v120, v89, s27, v119
	v_add_f16_e32 v115, v120, v115
	v_mul_f16_e32 v120, 0xbbeb, v75
	v_fma_f16 v121, v54, s17, v120
	v_mul_f16_e32 v122, 0x3482, v77
	v_add_f16_e32 v121, v11, v121
	v_fma_f16 v123, v56, s18, v122
	v_add_f16_e32 v121, v123, v121
	v_mul_f16_e32 v123, 0x3b47, v78
	v_fma_f16 v124, v58, s7, v123
	v_add_f16_e32 v121, v124, v121
	v_mul_f16_e32 v124, 0xb853, v90
	;; [unrolled: 3-line block ×4, first 2 shown]
	v_fma_f16 v127, v60, s27, v126
	v_mul_f16_e32 v128, 0xb08e, v82
	v_add_f16_sdwa v127, v11, v127 dst_sel:DWORD dst_unused:UNUSED_PAD src0_sel:WORD_1 src1_sel:DWORD
	v_fma_f16 v129, v62, s22, v128
	v_add_f16_e32 v127, v129, v127
	v_mul_f16_e32 v129, 0x3abb, v84
	v_fma_f16 v130, v70, s25, v129
	v_add_f16_e32 v127, v130, v127
	v_mul_f16_e32 v130, 0xbbad, v92
	;; [unrolled: 3-line block ×4, first 2 shown]
	v_fma_f16 v133, v54, s16, v132
	v_mul_f16_e32 v134, 0x3beb, v77
	v_add_f16_e32 v133, v11, v133
	v_fma_f16 v135, v56, s17, v134
	v_add_f16_e32 v133, v135, v133
	v_mul_f16_e32 v135, 0xb853, v78
	v_fma_f16 v136, v58, s6, v135
	v_add_f16_e32 v133, v136, v133
	v_mul_f16_e32 v136, 0xb482, v90
	;; [unrolled: 3-line block ×3, first 2 shown]
	v_mul_f16_e32 v95, 0x3abb, v81
	v_mul_f16_e32 v97, 0x36a6, v81
	v_fma_f16 v138, v86, s7, v137
	v_mul_f16_e32 v81, 0xbbad, v81
	v_mul_f16_e32 v99, 0x36a6, v82
	;; [unrolled: 1-line block ×3, first 2 shown]
	v_add_f16_e32 v133, v138, v133
	v_fma_f16 v138, v60, s21, v81
	v_mul_f16_e32 v82, 0x3abb, v82
	v_mul_f16_e32 v103, 0xb08e, v84
	;; [unrolled: 1-line block ×3, first 2 shown]
	v_add_f16_sdwa v138, v11, v138 dst_sel:DWORD dst_unused:UNUSED_PAD src0_sel:WORD_1 src1_sel:DWORD
	v_fma_f16 v139, v62, s19, v82
	v_mul_f16_e32 v84, 0xb93d, v84
	v_mul_f16_e32 v107, 0xb93d, v92
	;; [unrolled: 1-line block ×3, first 2 shown]
	v_add_f16_e32 v138, v139, v138
	v_fma_f16 v139, v70, s27, v84
	v_mul_f16_e32 v92, 0x36a6, v92
	v_mul_f16_e32 v111, 0xbbad, v93
	;; [unrolled: 1-line block ×3, first 2 shown]
	v_add_f16_e32 v138, v139, v138
	v_fma_f16 v139, v85, s26, v92
	v_mul_f16_e32 v93, 0xb08e, v93
	v_add_f16_e32 v138, v139, v138
	v_fma_f16 v139, v89, s24, v93
	v_mul_f16_e32 v75, 0xb482, v75
	;; [unrolled: 3-line block ×3, first 2 shown]
	v_fma_f16 v75, v54, s18, -v75
	v_fma_f16 v140, v56, s6, v77
	v_mul_f16_e32 v78, 0xba0c, v78
	v_add_f16_e32 v75, v11, v75
	v_fma_f16 v77, v56, s6, -v77
	v_mul_f16_e32 v90, 0x3b47, v90
	v_add_f16_e32 v75, v77, v75
	v_fma_f16 v77, v58, s16, -v78
	;; [unrolled: 3-line block ×3, first 2 shown]
	v_add_f16_e32 v75, v77, v75
	v_fma_f16 v77, v86, s17, -v91
	v_add_f16_e32 v139, v11, v139
	v_add_f16_e32 v75, v77, v75
	v_fma_f16 v77, v60, s20, v126
	v_add_f16_e32 v139, v140, v139
	v_fma_f16 v140, v58, s16, v78
	v_fma_f16 v81, v60, s23, v81
	v_add_f16_sdwa v77, v11, v77 dst_sel:DWORD dst_unused:UNUSED_PAD src0_sel:WORD_1 src1_sel:DWORD
	v_fma_f16 v78, v62, s24, v128
	v_add_f16_sdwa v81, v11, v81 dst_sel:DWORD dst_unused:UNUSED_PAD src0_sel:WORD_1 src1_sel:DWORD
	v_fma_f16 v82, v62, s25, v82
	v_add_f16_e32 v77, v78, v77
	v_fma_f16 v78, v70, s19, v129
	s_movk_i32 s28, 0x3b47
	v_add_f16_e32 v81, v82, v81
	v_fma_f16 v82, v70, s20, v84
	v_add_f16_e32 v77, v78, v77
	v_fma_f16 v78, v85, s23, v130
	;; [unrolled: 2-line block ×4, first 2 shown]
	v_mul_f16_e32 v94, 0x3abb, v54
	v_mul_f16_e32 v96, 0x36a6, v54
	v_add_f16_e32 v81, v82, v81
	v_fma_f16 v82, v89, s22, v93
	v_add_f16_e32 v77, v78, v77
	v_fma_f16 v78, v54, s16, -v132
	v_fma_f16 v54, v54, s17, -v120
	v_mul_f16_e32 v98, 0x36a6, v56
	v_mul_f16_e32 v100, 0xb93d, v56
	v_add_f16_e32 v81, v82, v81
	v_fma_f16 v82, v56, s17, -v134
	v_add_f16_e32 v54, v11, v54
	v_fma_f16 v56, v56, s18, -v122
	;; [unrolled: 2-line block ×5, first 2 shown]
	v_add_f16_e32 v78, v11, v78
	v_add_f16_e32 v54, v56, v54
	;; [unrolled: 1-line block ×3, first 2 shown]
	v_mul_f16_e32 v102, 0xb08e, v58
	v_mul_f16_e32 v104, 0xbbad, v58
	v_add_f16_e32 v78, v82, v78
	v_fma_f16 v82, v58, s6, -v135
	v_add_f16_sdwa v56, v11, v56 dst_sel:DWORD dst_unused:UNUSED_PAD src0_sel:WORD_1 src1_sel:DWORD
	v_add_f16_e32 v58, v68, v101
	v_fma_f16 v60, v60, s22, v114
	v_add_f16_e32 v56, v58, v56
	v_add_f16_e32 v58, v74, v105
	v_add_f16_sdwa v60, v11, v60 dst_sel:DWORD dst_unused:UNUSED_PAD src0_sel:WORD_1 src1_sel:DWORD
	v_fma_f16 v62, v62, s21, v116
	v_add_f16_e32 v56, v58, v56
	v_add_f16_e32 v58, v83, v109
	v_add_f16_e32 v60, v62, v60
	v_fma_f16 v62, v70, s28, v117
	v_add_f16_e32 v56, v58, v56
	v_add_f16_e32 v58, v87, v113
	;; [unrolled: 1-line block ×3, first 2 shown]
	v_fma_f16 v62, v85, s19, v118
	v_add_f16_e32 v56, v58, v56
	v_sub_f16_e32 v58, v96, v65
	v_add_f16_e32 v61, v61, v95
	v_sub_f16_e32 v55, v94, v55
	v_add_f16_e32 v60, v62, v60
	v_fma_f16 v62, v89, s20, v119
	v_add_f16_e32 v58, v11, v58
	v_add_f16_sdwa v61, v11, v61 dst_sel:DWORD dst_unused:UNUSED_PAD src0_sel:WORD_1 src1_sel:DWORD
	v_add_f16_e32 v55, v11, v55
	v_add_f16_e32 v25, v11, v25
	v_add_f16_sdwa v11, v11, v12 dst_sel:DWORD dst_unused:UNUSED_PAD src0_sel:WORD_1 src1_sel:DWORD
	v_add_f16_e32 v60, v62, v60
	v_sub_f16_e32 v62, v100, v66
	v_add_f16_e32 v25, v25, v27
	v_add_f16_e32 v11, v11, v13
	v_mul_f16_e32 v108, 0xb08e, v79
	v_add_f16_e32 v58, v62, v58
	v_sub_f16_e32 v62, v104, v71
	v_add_f16_e32 v25, v25, v28
	v_add_f16_e32 v11, v11, v14
	v_mul_f16_e32 v112, 0x3abb, v86
	v_add_f16_e32 v58, v62, v58
	v_sub_f16_e32 v62, v108, v76
	v_add_f16_e32 v25, v25, v29
	v_add_f16_e32 v11, v11, v15
	;; [unrolled: 1-line block ×3, first 2 shown]
	v_sub_f16_e32 v62, v112, v88
	v_add_f16_e32 v25, v25, v30
	v_add_f16_e32 v11, v11, v16
	;; [unrolled: 1-line block ×4, first 2 shown]
	v_sub_f16_e32 v57, v98, v57
	v_add_f16_e32 v25, v25, v31
	v_add_f16_e32 v11, v11, v17
	v_mul_f16_e32 v106, 0xb93d, v79
	v_add_f16_e32 v61, v62, v61
	v_add_f16_e32 v62, v64, v103
	;; [unrolled: 1-line block ×3, first 2 shown]
	v_sub_f16_e32 v57, v102, v59
	v_add_f16_e32 v25, v25, v47
	v_add_f16_e32 v11, v11, v18
	v_mul_f16_e32 v110, 0xbbad, v86
	v_add_f16_e32 v61, v62, v61
	v_add_f16_e32 v62, v72, v107
	;; [unrolled: 1-line block ×3, first 2 shown]
	v_sub_f16_e32 v57, v106, v69
	v_add_f16_e32 v25, v25, v48
	v_add_f16_e32 v11, v11, v19
	;; [unrolled: 1-line block ×5, first 2 shown]
	v_sub_f16_e32 v57, v110, v73
	v_add_f16_e32 v25, v25, v52
	v_add_f16_e32 v11, v11, v20
	v_mul_u32_u24_e32 v12, 0x63, v44
	v_add_f16_e32 v78, v82, v78
	v_fma_f16 v82, v79, s18, -v136
	v_add_f16_e32 v61, v62, v61
	v_add_f16_e32 v55, v57, v55
	;; [unrolled: 1-line block ×4, first 2 shown]
	v_add_u32_sdwa v12, v12, v45 dst_sel:DWORD dst_unused:UNUSED_PAD src0_sel:DWORD src1_sel:BYTE_0
	v_add_f16_e32 v139, v140, v139
	v_fma_f16 v140, v79, s7, v90
	v_add_f16_e32 v78, v82, v78
	v_fma_f16 v82, v86, s7, -v137
	v_lshl_add_u32 v12, v12, 2, v43
	v_pack_b32_f16 v11, v25, v11
	v_pack_b32_f16 v13, v55, v61
	v_add_f16_e32 v139, v140, v139
	v_fma_f16 v140, v86, s17, v91
	v_add_f16_e32 v78, v82, v78
	ds_write2_b32 v12, v11, v13 offset1:9
	v_pack_b32_f16 v11, v58, v56
	v_pack_b32_f16 v13, v54, v60
	v_add_f16_e32 v139, v140, v139
	ds_write2_b32 v12, v11, v13 offset0:18 offset1:27
	v_pack_b32_f16 v11, v78, v77
	v_pack_b32_f16 v13, v75, v81
	ds_write2_b32 v12, v11, v13 offset0:36 offset1:45
	v_pack_b32_f16 v11, v139, v138
	v_pack_b32_f16 v13, v133, v127
	s_mov_b32 s6, 0x5040100
	ds_write2_b32 v12, v11, v13 offset0:54 offset1:63
	v_pack_b32_f16 v11, v121, v115
	v_perm_b32 v13, v49, v23, s6
	ds_write2_b32 v12, v11, v13 offset0:72 offset1:81
	v_perm_b32 v11, v51, v50, s6
	ds_write_b32 v12, v11 offset:360
.LBB0_5:
	s_or_b64 exec, exec, s[4:5]
	v_add_co_u32_e32 v28, vcc, 0xc6, v41
	s_mov_b32 s4, 0xa57f
	v_mul_u32_u24_sdwa v13, v28, s4 dst_sel:DWORD dst_unused:UNUSED_PAD src0_sel:WORD_0 src1_sel:DWORD
	v_lshrrev_b32_e32 v13, 22, v13
	v_mul_lo_u16_e32 v13, 0x63, v13
	v_lshlrev_b32_e32 v27, 3, v41
	v_sub_u16_e32 v29, v28, v13
	s_waitcnt lgkmcnt(0)
	s_barrier
	global_load_dwordx2 v[11:12], v27, s[14:15] offset:360
	v_lshlrev_b16_e32 v13, 3, v29
	v_mov_b32_e32 v14, s15
	v_add_co_u32_e32 v13, vcc, s14, v13
	v_addc_co_u32_e32 v14, vcc, 0, v14, vcc
	global_load_dwordx2 v[13:14], v[13:14], off offset:360
	v_add_u32_e32 v31, 0x200, v33
	ds_read2_b32 v[15:16], v33 offset1:99
	v_add_u32_e32 v52, 0x800, v33
	v_add_u32_e32 v53, 0x400, v33
	ds_read_b32 v30, v33 offset:3168
	ds_read2_b32 v[17:18], v31 offset0:70 offset1:169
	ds_read2_b32 v[19:20], v52 offset0:82 offset1:181
	;; [unrolled: 1-line block ×3, first 2 shown]
	s_waitcnt lgkmcnt(4)
	v_lshrrev_b32_e32 v47, 16, v15
	v_lshrrev_b32_e32 v48, 16, v16
	s_waitcnt lgkmcnt(2)
	v_lshrrev_b32_e32 v55, 16, v18
	s_waitcnt lgkmcnt(1)
	;; [unrolled: 2-line block ×3, first 2 shown]
	v_lshrrev_b32_e32 v57, 16, v25
	v_lshrrev_b32_e32 v58, 16, v20
	;; [unrolled: 1-line block ×4, first 2 shown]
	s_movk_i32 s6, 0x3aee
	s_mov_b32 s5, 0xbaee
	v_lshrrev_b32_e32 v59, 16, v17
	s_waitcnt vmcnt(0)
	s_barrier
	s_add_u32 s4, s12, 0xdec
	s_movk_i32 s7, 0x318f
	s_movk_i32 s12, 0x3be1
	v_mul_f16_sdwa v61, v55, v11 dst_sel:DWORD dst_unused:UNUSED_PAD src0_sel:DWORD src1_sel:WORD_1
	v_mul_f16_sdwa v62, v18, v11 dst_sel:DWORD dst_unused:UNUSED_PAD src0_sel:DWORD src1_sel:WORD_1
	;; [unrolled: 1-line block ×7, first 2 shown]
	v_fma_f16 v18, v18, v11, -v61
	v_fma_f16 v55, v55, v11, v62
	v_fma_f16 v19, v19, v12, -v63
	v_mul_f16_sdwa v67, v58, v12 dst_sel:DWORD dst_unused:UNUSED_PAD src0_sel:DWORD src1_sel:WORD_1
	v_fma_f16 v56, v56, v12, v64
	v_fma_f16 v25, v25, v11, -v65
	v_fma_f16 v57, v57, v11, v66
	v_fma_f16 v58, v58, v12, v68
	v_add_f16_e32 v62, v18, v19
	v_add_f16_e32 v64, v47, v55
	v_fma_f16 v20, v20, v12, -v67
	v_add_f16_e32 v61, v15, v18
	v_sub_f16_e32 v63, v55, v56
	v_add_f16_e32 v55, v55, v56
	v_add_f16_e32 v65, v16, v25
	v_sub_f16_e32 v67, v57, v58
	v_add_f16_e32 v68, v48, v57
	v_add_f16_e32 v57, v57, v58
	v_fma_f16 v15, v62, -0.5, v15
	v_add_f16_e32 v56, v64, v56
	v_mul_f16_sdwa v62, v60, v13 dst_sel:DWORD dst_unused:UNUSED_PAD src0_sel:DWORD src1_sel:WORD_1
	v_mul_f16_sdwa v64, v54, v14 dst_sel:DWORD dst_unused:UNUSED_PAD src0_sel:DWORD src1_sel:WORD_1
	v_add_f16_e32 v66, v25, v20
	v_sub_f16_e32 v25, v25, v20
	v_add_f16_e32 v20, v65, v20
	v_fma_f16 v48, v57, -0.5, v48
	v_fma_f16 v57, v63, s6, v15
	v_fma_f16 v15, v63, s5, v15
	v_mul_f16_sdwa v63, v26, v13 dst_sel:DWORD dst_unused:UNUSED_PAD src0_sel:DWORD src1_sel:WORD_1
	v_mul_f16_sdwa v65, v30, v14 dst_sel:DWORD dst_unused:UNUSED_PAD src0_sel:DWORD src1_sel:WORD_1
	v_fma_f16 v26, v26, v13, -v62
	v_fma_f16 v30, v30, v14, -v64
	v_fma_f16 v60, v60, v13, v63
	v_fma_f16 v54, v54, v14, v65
	v_add_f16_e32 v62, v26, v30
	v_sub_f16_e32 v18, v18, v19
	v_add_f16_e32 v19, v61, v19
	v_fma_f16 v61, v25, s5, v48
	v_fma_f16 v25, v25, s6, v48
	v_add_f16_e32 v48, v17, v26
	v_fma_f16 v17, v62, -0.5, v17
	v_sub_f16_e32 v62, v60, v54
	v_fma_f16 v47, v55, -0.5, v47
	v_fma_f16 v63, v62, s6, v17
	v_fma_f16 v17, v62, s5, v17
	v_add_f16_e32 v62, v59, v60
	v_fma_f16 v16, v66, -0.5, v16
	v_add_f16_e32 v55, v68, v58
	v_fma_f16 v58, v18, s5, v47
	v_fma_f16 v18, v18, s6, v47
	v_add_f16_e32 v62, v62, v54
	v_add_f16_e32 v54, v60, v54
	v_fma_f16 v47, v67, s6, v16
	v_fma_f16 v16, v67, s5, v16
	v_fma_f16 v54, v54, -0.5, v59
	v_sub_f16_e32 v26, v26, v30
	v_pack_b32_f16 v15, v15, v18
	v_pack_b32_f16 v18, v20, v55
	v_add_f16_e32 v48, v48, v30
	v_fma_f16 v30, v26, s5, v54
	ds_write2_b32 v31, v15, v18 offset0:70 offset1:169
	v_pack_b32_f16 v15, v47, v61
	v_pack_b32_f16 v16, v16, v25
	v_lshl_add_u32 v47, v29, 2, v43
	v_fma_f16 v26, v26, s6, v54
	v_pack_b32_f16 v19, v19, v56
	v_pack_b32_f16 v54, v57, v58
	ds_write2_b32 v53, v15, v16 offset0:140 offset1:239
	v_pack_b32_f16 v15, v48, v62
	v_pack_b32_f16 v16, v63, v30
	v_add_u32_e32 v18, 0x800, v47
	ds_write2_b32 v33, v19, v54 offset1:99
	ds_write2_b32 v18, v15, v16 offset0:82 offset1:181
	v_pack_b32_f16 v15, v17, v26
	ds_write_b32 v47, v15 offset:3168
	s_waitcnt lgkmcnt(0)
	s_barrier
	global_load_dwordx2 v[15:16], v27, s[14:15] offset:1152
	v_add_u32_e32 v17, 0x318, v27
	global_load_dwordx2 v[17:18], v17, s[14:15] offset:1152
	v_lshlrev_b32_e32 v19, 3, v28
	global_load_dwordx2 v[19:20], v19, s[14:15] offset:1152
	ds_read2_b32 v[25:26], v33 offset1:99
	ds_read2_b32 v[27:28], v31 offset0:70 offset1:169
	ds_read2_b32 v[29:30], v52 offset0:82 offset1:181
	;; [unrolled: 1-line block ×3, first 2 shown]
	ds_read_b32 v48, v33 offset:3168
	s_waitcnt lgkmcnt(4)
	v_lshrrev_b32_e32 v56, 16, v25
	s_waitcnt lgkmcnt(3)
	v_lshrrev_b32_e32 v57, 16, v28
	s_waitcnt lgkmcnt(2)
	v_lshrrev_b32_e32 v58, 16, v29
	s_waitcnt lgkmcnt(1)
	v_lshrrev_b32_e32 v60, 16, v54
	v_lshrrev_b32_e32 v61, 16, v30
	v_lshrrev_b32_e32 v63, 16, v55
	s_waitcnt lgkmcnt(0)
	v_lshrrev_b32_e32 v64, 16, v48
	v_lshrrev_b32_e32 v59, 16, v26
	;; [unrolled: 1-line block ×3, first 2 shown]
	s_mov_b32 s14, 0xbb84
	s_mov_b32 s15, 0xb924
	s_waitcnt vmcnt(2)
	v_mul_f16_sdwa v66, v28, v15 dst_sel:DWORD dst_unused:UNUSED_PAD src0_sel:DWORD src1_sel:WORD_1
	v_mul_f16_sdwa v68, v29, v16 dst_sel:DWORD dst_unused:UNUSED_PAD src0_sel:DWORD src1_sel:WORD_1
	;; [unrolled: 1-line block ×4, first 2 shown]
	s_waitcnt vmcnt(1)
	v_mul_f16_sdwa v69, v60, v17 dst_sel:DWORD dst_unused:UNUSED_PAD src0_sel:DWORD src1_sel:WORD_1
	v_mul_f16_sdwa v71, v61, v18 dst_sel:DWORD dst_unused:UNUSED_PAD src0_sel:DWORD src1_sel:WORD_1
	v_fma_f16 v57, v57, v15, v66
	v_fma_f16 v58, v58, v16, v68
	v_mul_f16_sdwa v70, v54, v17 dst_sel:DWORD dst_unused:UNUSED_PAD src0_sel:DWORD src1_sel:WORD_1
	v_mul_f16_sdwa v72, v30, v18 dst_sel:DWORD dst_unused:UNUSED_PAD src0_sel:DWORD src1_sel:WORD_1
	v_fma_f16 v28, v28, v15, -v65
	v_fma_f16 v29, v29, v16, -v67
	v_fma_f16 v54, v54, v17, -v69
	v_fma_f16 v30, v30, v18, -v71
	v_sub_f16_e32 v67, v57, v58
	v_add_f16_e32 v68, v56, v57
	v_add_f16_e32 v57, v57, v58
	v_fma_f16 v60, v60, v17, v70
	v_fma_f16 v61, v61, v18, v72
	v_add_f16_e32 v65, v25, v28
	v_add_f16_e32 v66, v28, v29
	v_fma_f16 v56, v57, -0.5, v56
	v_sub_f16_e32 v28, v28, v29
	v_add_f16_e32 v57, v54, v30
	s_waitcnt vmcnt(0)
	v_mul_f16_sdwa v73, v63, v19 dst_sel:DWORD dst_unused:UNUSED_PAD src0_sel:DWORD src1_sel:WORD_1
	v_mul_f16_sdwa v75, v64, v20 dst_sel:DWORD dst_unused:UNUSED_PAD src0_sel:DWORD src1_sel:WORD_1
	v_add_f16_e32 v65, v65, v29
	v_fma_f16 v25, v66, -0.5, v25
	v_fma_f16 v29, v28, s5, v56
	v_fma_f16 v28, v28, s6, v56
	v_add_f16_e32 v56, v26, v54
	v_fma_f16 v26, v57, -0.5, v26
	v_sub_f16_e32 v57, v60, v61
	v_mul_f16_sdwa v74, v55, v19 dst_sel:DWORD dst_unused:UNUSED_PAD src0_sel:DWORD src1_sel:WORD_1
	v_mul_f16_sdwa v76, v48, v20 dst_sel:DWORD dst_unused:UNUSED_PAD src0_sel:DWORD src1_sel:WORD_1
	v_fma_f16 v55, v55, v19, -v73
	v_fma_f16 v48, v48, v20, -v75
	v_fma_f16 v66, v67, s6, v25
	v_fma_f16 v25, v67, s5, v25
	v_add_f16_e32 v67, v68, v58
	v_fma_f16 v58, v57, s6, v26
	v_fma_f16 v26, v57, s5, v26
	v_add_f16_e32 v57, v59, v60
	v_add_f16_e32 v60, v60, v61
	v_fma_f16 v63, v63, v19, v74
	v_fma_f16 v64, v64, v20, v76
	v_add_f16_e32 v56, v56, v30
	v_fma_f16 v59, v60, -0.5, v59
	v_sub_f16_e32 v30, v54, v30
	v_add_f16_e32 v60, v55, v48
	v_fma_f16 v54, v30, s5, v59
	v_fma_f16 v30, v30, s6, v59
	v_add_f16_e32 v59, v27, v55
	v_fma_f16 v27, v60, -0.5, v27
	v_sub_f16_e32 v60, v63, v64
	v_add_f16_e32 v57, v57, v61
	v_fma_f16 v61, v60, s6, v27
	v_fma_f16 v27, v60, s5, v27
	v_add_f16_e32 v60, v62, v63
	v_add_f16_e32 v63, v63, v64
	;; [unrolled: 1-line block ×3, first 2 shown]
	v_fma_f16 v62, v63, -0.5, v62
	v_sub_f16_e32 v48, v55, v48
	v_pack_b32_f16 v25, v25, v28
	v_fma_f16 v55, v48, s5, v62
	v_fma_f16 v62, v48, s6, v62
	v_pack_b32_f16 v48, v65, v67
	v_pack_b32_f16 v29, v66, v29
	ds_write_b32 v33, v25 offset:2376
	v_pack_b32_f16 v25, v56, v57
	ds_write_b32 v33, v29 offset:1188
	ds_write2_b32 v33, v48, v25 offset1:99
	v_lshl_add_u32 v48, v41, 2, v43
	v_pack_b32_f16 v25, v58, v54
	v_add_f16_e32 v60, v60, v64
	ds_write_b32 v48, v25 offset:1584
	v_pack_b32_f16 v25, v26, v30
	ds_write_b32 v48, v25 offset:2772
	v_pack_b32_f16 v25, v59, v60
	;; [unrolled: 2-line block ×4, first 2 shown]
	ds_write_b32 v33, v25 offset:3168
	s_waitcnt lgkmcnt(0)
	s_barrier
	global_load_dword v26, v[21:22], off offset:3564
	s_addc_u32 s5, s13, 0
	global_load_dword v27, v24, s[4:5] offset:396
	global_load_dword v28, v24, s[4:5] offset:792
	;; [unrolled: 1-line block ×8, first 2 shown]
	ds_read2_b32 v[21:22], v33 offset1:99
	ds_read2_b32 v[24:25], v31 offset0:70 offset1:169
	s_movk_i32 s5, 0x3a21
	s_movk_i32 s13, 0x3579
	s_mov_b32 s4, 0xffff
	s_waitcnt lgkmcnt(1)
	v_lshrrev_b32_e32 v58, 16, v21
	v_lshrrev_b32_e32 v59, 16, v22
	s_waitcnt lgkmcnt(0)
	v_lshrrev_b32_e32 v60, 16, v24
	s_waitcnt vmcnt(7)
	v_mul_f16_sdwa v63, v59, v27 dst_sel:DWORD dst_unused:UNUSED_PAD src0_sel:DWORD src1_sel:WORD_1
	v_mul_f16_sdwa v64, v22, v27 dst_sel:DWORD dst_unused:UNUSED_PAD src0_sel:DWORD src1_sel:WORD_1
	v_fma_f16 v22, v22, v27, -v63
	v_fma_f16 v27, v59, v27, v64
	v_pack_b32_f16 v22, v22, v27
	v_mul_f16_sdwa v61, v58, v26 dst_sel:DWORD dst_unused:UNUSED_PAD src0_sel:DWORD src1_sel:WORD_1
	v_mul_f16_sdwa v62, v21, v26 dst_sel:DWORD dst_unused:UNUSED_PAD src0_sel:DWORD src1_sel:WORD_1
	v_fma_f16 v21, v21, v26, -v61
	v_fma_f16 v26, v58, v26, v62
	v_pack_b32_f16 v21, v21, v26
	v_lshrrev_b32_e32 v26, 16, v25
	ds_write2_b32 v33, v21, v22 offset1:99
	s_waitcnt vmcnt(5)
	v_mul_f16_sdwa v21, v26, v29 dst_sel:DWORD dst_unused:UNUSED_PAD src0_sel:DWORD src1_sel:WORD_1
	v_fma_f16 v27, v25, v29, -v21
	ds_read2_b32 v[21:22], v53 offset0:140 offset1:239
	v_mul_f16_sdwa v65, v60, v28 dst_sel:DWORD dst_unused:UNUSED_PAD src0_sel:DWORD src1_sel:WORD_1
	v_mul_f16_sdwa v66, v24, v28 dst_sel:DWORD dst_unused:UNUSED_PAD src0_sel:DWORD src1_sel:WORD_1
	;; [unrolled: 1-line block ×3, first 2 shown]
	v_fma_f16 v24, v24, v28, -v65
	v_fma_f16 v28, v60, v28, v66
	v_fma_f16 v25, v26, v29, v25
	v_pack_b32_f16 v24, v24, v28
	v_pack_b32_f16 v25, v27, v25
	ds_write2_b32 v31, v24, v25 offset0:70 offset1:169
	s_waitcnt lgkmcnt(1)
	v_lshrrev_b32_e32 v24, 16, v21
	s_waitcnt vmcnt(4)
	v_mul_f16_sdwa v25, v24, v30 dst_sel:DWORD dst_unused:UNUSED_PAD src0_sel:DWORD src1_sel:WORD_1
	v_fma_f16 v25, v21, v30, -v25
	v_mul_f16_sdwa v21, v21, v30 dst_sel:DWORD dst_unused:UNUSED_PAD src0_sel:DWORD src1_sel:WORD_1
	v_lshrrev_b32_e32 v26, 16, v22
	v_fma_f16 v21, v24, v30, v21
	s_waitcnt vmcnt(3)
	v_mul_f16_sdwa v24, v26, v54 dst_sel:DWORD dst_unused:UNUSED_PAD src0_sel:DWORD src1_sel:WORD_1
	v_pack_b32_f16 v21, v25, v21
	v_fma_f16 v27, v22, v54, -v24
	ds_read2_b32 v[24:25], v52 offset0:82 offset1:181
	v_mul_f16_sdwa v22, v22, v54 dst_sel:DWORD dst_unused:UNUSED_PAD src0_sel:DWORD src1_sel:WORD_1
	v_fma_f16 v22, v26, v54, v22
	v_pack_b32_f16 v22, v27, v22
	ds_write2_b32 v53, v21, v22 offset0:140 offset1:239
	s_waitcnt lgkmcnt(1)
	v_lshrrev_b32_e32 v21, 16, v24
	s_waitcnt vmcnt(2)
	v_mul_f16_sdwa v22, v21, v55 dst_sel:DWORD dst_unused:UNUSED_PAD src0_sel:DWORD src1_sel:WORD_1
	v_fma_f16 v22, v24, v55, -v22
	v_mul_f16_sdwa v24, v24, v55 dst_sel:DWORD dst_unused:UNUSED_PAD src0_sel:DWORD src1_sel:WORD_1
	v_fma_f16 v21, v21, v55, v24
	v_pack_b32_f16 v21, v22, v21
	v_lshrrev_b32_e32 v22, 16, v25
	ds_read_b32 v26, v33 offset:3168
	s_waitcnt vmcnt(1)
	v_mul_f16_sdwa v24, v22, v56 dst_sel:DWORD dst_unused:UNUSED_PAD src0_sel:DWORD src1_sel:WORD_1
	v_fma_f16 v24, v25, v56, -v24
	v_mul_f16_sdwa v25, v25, v56 dst_sel:DWORD dst_unused:UNUSED_PAD src0_sel:DWORD src1_sel:WORD_1
	v_fma_f16 v22, v22, v56, v25
	v_pack_b32_f16 v22, v24, v22
	ds_write2_b32 v52, v21, v22 offset0:82 offset1:181
	s_waitcnt lgkmcnt(1)
	v_lshrrev_b32_e32 v21, 16, v26
	s_waitcnt vmcnt(0)
	v_mul_f16_sdwa v22, v21, v57 dst_sel:DWORD dst_unused:UNUSED_PAD src0_sel:DWORD src1_sel:WORD_1
	v_mul_f16_sdwa v24, v26, v57 dst_sel:DWORD dst_unused:UNUSED_PAD src0_sel:DWORD src1_sel:WORD_1
	v_fma_f16 v22, v26, v57, -v22
	v_fma_f16 v21, v21, v57, v24
	v_pack_b32_f16 v21, v22, v21
	ds_write_b32 v33, v21 offset:3168
	s_waitcnt lgkmcnt(0)
	s_barrier
	ds_read2_b32 v[21:22], v33 offset1:99
	ds_read2_b32 v[25:26], v31 offset0:70 offset1:169
	ds_read_b32 v31, v33 offset:3168
	ds_read2_b32 v[27:28], v52 offset0:82 offset1:181
	ds_read2_b32 v[29:30], v53 offset0:140 offset1:239
	s_waitcnt lgkmcnt(4)
	v_lshrrev_b32_e32 v55, 16, v21
	s_waitcnt lgkmcnt(0)
	v_pk_add_f16 v54, v22, v31
	v_pk_add_f16 v56, v25, v28
	;; [unrolled: 1-line block ×3, first 2 shown]
	v_lshrrev_b32_e32 v61, 16, v54
	v_fma_f16 v24, v54, s5, v21
	v_pk_add_f16 v62, v56, v54
	v_pk_add_f16 v65, v22, v31 neg_lo:[0,1] neg_hi:[0,1]
	v_fma_f16 v57, v61, s5, v55
	v_lshrrev_b32_e32 v58, 16, v56
	v_fma_f16 v59, v56, s7, v24
	v_pk_add_f16 v24, v60, v62
	v_pk_add_f16 v66, v25, v28 neg_lo:[0,1] neg_hi:[0,1]
	v_pk_add_f16 v26, v26, v27 neg_lo:[0,1] neg_hi:[0,1]
	v_mul_f16_e32 v22, 0x3924, v65
	v_fma_f16 v57, v58, s7, v57
	v_pk_add_f16 v24, v29, v24
	v_pk_mul_f16 v31, v26, s6 op_sel_hi:[1,0]
	v_fma_f16 v22, v66, s12, v22
	v_pk_add_f16 v69, v29, v30 neg_lo:[0,1] neg_hi:[0,1]
	v_pk_mul_f16 v71, v60, 0.5 op_sel_hi:[1,0]
	v_pk_add_f16 v29, v29, v30
	v_pk_add_f16 v24, v30, v24
	v_add_f16_e32 v22, v31, v22
	v_sub_f16_sdwa v28, v57, v71 dst_sel:DWORD dst_unused:UNUSED_PAD src0_sel:DWORD src1_sel:WORD_1
	v_lshrrev_b32_e32 v30, 16, v29
	v_fma_f16 v27, v69, s13, v22
	v_fma_f16 v28, v30, s14, v28
	;; [unrolled: 1-line block ×3, first 2 shown]
	v_add_f16_e32 v55, v27, v28
	v_fma_f16 v57, v27, -2.0, v55
	v_pk_mul_f16 v27, v69, s15 op_sel_hi:[1,0]
	v_pk_fma_f16 v27, v65, s12, v27 op_sel_hi:[1,0,1]
	v_pk_fma_f16 v26, v26, s6, v27 op_sel_hi:[1,0,1] neg_lo:[1,0,0] neg_hi:[1,0,0]
	v_pk_fma_f16 v27, v29, s5, v21 op_sel_hi:[1,0,1]
	v_pk_fma_f16 v27, v54, s7, v27 op_sel_hi:[1,0,1]
	v_lshrrev_b32_e32 v67, 16, v65
	v_pk_fma_f16 v27, v60, 0.5, v27 op_sel_hi:[1,0,1] neg_lo:[1,0,0] neg_hi:[1,0,0]
	v_mul_f16_e32 v25, 0x3924, v67
	v_lshrrev_b32_e32 v68, 16, v66
	v_pk_fma_f16 v26, v66, s13, v26 op_sel_hi:[1,0,1]
	v_pk_fma_f16 v27, v56, s14, v27 op_sel_hi:[1,0,1]
	v_fma_f16 v63, v56, s5, v21
	v_fma_f16 v25, v68, s12, v25
	v_pk_add_f16 v56, v27, v26 op_sel:[0,1] op_sel_hi:[1,0]
	v_add_f16_sdwa v25, v31, v25 dst_sel:DWORD dst_unused:UNUSED_PAD src0_sel:WORD_1 src1_sel:DWORD
	v_lshrrev_b32_e32 v70, 16, v69
	v_pk_add_f16 v28, v27, v26 op_sel:[0,1] op_sel_hi:[1,0] neg_lo:[0,1] neg_hi:[0,1]
	v_lshrrev_b32_e32 v58, 16, v56
	v_fma_f16 v22, v70, s13, v25
	v_sub_f16_e32 v25, v59, v71
	v_bfi_b32 v72, s4, v28, v56
	v_lshrrev_b32_e32 v27, 16, v26
	v_fma_f16 v59, v26, -2.0, v58
	v_mul_f16_e32 v26, 0x3be1, v69
	v_mul_f16_e32 v56, 0x3be1, v70
	v_fma_f16 v26, v66, s15, -v26
	v_fma_f16 v56, v68, s15, -v56
	v_add_f16_e32 v26, v31, v26
	v_add_f16_sdwa v31, v31, v56 dst_sel:DWORD dst_unused:UNUSED_PAD src0_sel:WORD_1 src1_sel:DWORD
	v_fma_f16 v56, v29, s7, v63
	v_fma_f16 v30, v30, s7, v64
	v_sub_f16_e32 v56, v56, v71
	v_sub_f16_sdwa v30, v30, v71 dst_sel:DWORD dst_unused:UNUSED_PAD src0_sel:DWORD src1_sel:WORD_1
	v_fma_f16 v25, v29, s14, v25
	v_fma_f16 v26, v65, s13, v26
	;; [unrolled: 1-line block ×4, first 2 shown]
	v_sub_f16_e32 v25, v25, v22
	v_fma_f16 v31, v67, s13, v31
	v_add_f16_e32 v56, v26, v56
	v_pk_add_f16 v24, v24, v21
	v_sub_f16_e32 v30, v54, v31
	v_fma_f16 v54, v26, -2.0, v56
	v_pack_b32_f16 v26, v25, v55
	s_barrier
	ds_write2_b32 v46, v24, v26 offset1:1
	v_pk_add_f16 v26, v69, v65
	v_pk_add_f16 v26, v26, v66 neg_lo:[0,1] neg_hi:[0,1]
	v_pk_add_f16 v21, v60, v21
	v_pk_mul_f16 v60, v26, s6 op_sel_hi:[1,0]
	v_pk_add_f16 v26, v29, v62
	v_pk_fma_f16 v21, v26, 0.5, v21 op_sel_hi:[1,0,1] neg_lo:[1,0,0] neg_hi:[1,0,0]
	v_pk_add_f16 v29, v21, v60 op_sel:[0,1] op_sel_hi:[1,0] neg_lo:[0,1] neg_hi:[0,1]
	v_pk_add_f16 v21, v21, v60 op_sel:[0,1] op_sel_hi:[1,0]
	v_fma_f16 v31, v31, 2.0, v30
	v_bfi_b32 v62, s4, v29, v21
	v_lshrrev_b32_e32 v26, 16, v60
	v_lshrrev_b32_e32 v61, 16, v21
	v_fma_f16 v27, v27, 2.0, v28
	v_fma_f16 v26, v26, 2.0, v29
	v_fma_f16 v60, v60, -2.0, v61
	ds_write2_b32 v46, v72, v62 offset0:2 offset1:3
	v_pack_b32_f16 v21, v30, v56
	v_pack_b32_f16 v62, v31, v54
	v_fma_f16 v22, v22, 2.0, v25
	ds_write2_b32 v46, v21, v62 offset0:4 offset1:5
	v_pack_b32_f16 v21, v26, v60
	v_pack_b32_f16 v62, v27, v59
	ds_write2_b32 v46, v21, v62 offset0:6 offset1:7
	v_pack_b32_f16 v21, v22, v57
	ds_write_b32 v46, v21 offset:32
	s_waitcnt lgkmcnt(0)
	s_barrier
	s_and_saveexec_b64 s[4:5], s[0:1]
	s_cbranch_execz .LBB0_7
; %bb.6:
	v_add_u32_e32 v21, 0x600, v33
	ds_read2_b32 v[24:25], v33 offset1:81
	ds_read2_b32 v[28:29], v33 offset0:162 offset1:243
	ds_read2_b32 v[30:31], v53 offset0:68 offset1:149
	;; [unrolled: 1-line block ×4, first 2 shown]
	ds_read_b32 v50, v33 offset:3240
	s_waitcnt lgkmcnt(5)
	v_lshrrev_b32_e32 v55, 16, v25
	s_waitcnt lgkmcnt(4)
	v_lshrrev_b32_e32 v58, 16, v28
	v_lshrrev_b32_e32 v61, 16, v29
	s_waitcnt lgkmcnt(3)
	v_lshrrev_b32_e32 v56, 16, v30
	;; [unrolled: 3-line block ×5, first 2 shown]
.LBB0_7:
	s_or_b64 exec, exec, s[4:5]
	v_add_u32_e32 v21, 0x318, v33
	s_barrier
	s_and_saveexec_b64 s[4:5], s[0:1]
	s_cbranch_execz .LBB0_9
; %bb.8:
	v_mul_f16_sdwa v46, v0, v55 dst_sel:DWORD dst_unused:UNUSED_PAD src0_sel:WORD_1 src1_sel:DWORD
	v_fma_f16 v46, v0, v25, v46
	v_mul_f16_sdwa v52, v10, v51 dst_sel:DWORD dst_unused:UNUSED_PAD src0_sel:WORD_1 src1_sel:DWORD
	v_mul_f16_sdwa v25, v0, v25 dst_sel:DWORD dst_unused:UNUSED_PAD src0_sel:WORD_1 src1_sel:DWORD
	v_fma_f16 v52, v10, v50, v52
	v_mul_f16_sdwa v50, v10, v50 dst_sel:DWORD dst_unused:UNUSED_PAD src0_sel:WORD_1 src1_sel:DWORD
	v_fma_f16 v0, v0, v55, -v25
	v_mul_f16_sdwa v55, v9, v49 dst_sel:DWORD dst_unused:UNUSED_PAD src0_sel:WORD_1 src1_sel:DWORD
	v_fma_f16 v10, v10, v51, -v50
	v_mul_f16_sdwa v51, v1, v58 dst_sel:DWORD dst_unused:UNUSED_PAD src0_sel:WORD_1 src1_sel:DWORD
	v_fma_f16 v55, v9, v23, v55
	v_mul_f16_sdwa v23, v9, v23 dst_sel:DWORD dst_unused:UNUSED_PAD src0_sel:WORD_1 src1_sel:DWORD
	v_sub_f16_e32 v53, v46, v52
	v_fma_f16 v51, v1, v28, v51
	v_fma_f16 v9, v9, v49, -v23
	v_mul_f16_sdwa v23, v1, v28 dst_sel:DWORD dst_unused:UNUSED_PAD src0_sel:WORD_1 src1_sel:DWORD
	v_mul_f16_e32 v62, 0xbbeb, v53
	v_add_f16_e32 v25, v10, v0
	s_mov_b32 s0, 0xb08e
	v_sub_f16_e32 v63, v51, v55
	v_fma_f16 v1, v1, v58, -v23
	v_fma_f16 v50, v25, s0, v62
	v_mul_f16_e32 v64, 0x3482, v63
	v_add_f16_e32 v23, v9, v1
	s_mov_b32 s6, 0xbbad
	v_add_f16_sdwa v50, v24, v50 dst_sel:DWORD dst_unused:UNUSED_PAD src0_sel:WORD_1 src1_sel:DWORD
	v_fma_f16 v28, v23, s6, v64
	v_add_f16_e32 v28, v28, v50
	v_mul_f16_sdwa v50, v7, v57 dst_sel:DWORD dst_unused:UNUSED_PAD src0_sel:WORD_1 src1_sel:DWORD
	v_mul_f16_sdwa v49, v2, v61 dst_sel:DWORD dst_unused:UNUSED_PAD src0_sel:WORD_1 src1_sel:DWORD
	v_fma_f16 v50, v7, v22, v50
	v_mul_f16_sdwa v22, v7, v22 dst_sel:DWORD dst_unused:UNUSED_PAD src0_sel:WORD_1 src1_sel:DWORD
	v_fma_f16 v49, v2, v29, v49
	v_fma_f16 v7, v7, v57, -v22
	v_mul_f16_sdwa v22, v2, v29 dst_sel:DWORD dst_unused:UNUSED_PAD src0_sel:WORD_1 src1_sel:DWORD
	v_sub_f16_e32 v58, v49, v50
	v_fma_f16 v2, v2, v61, -v22
	v_mul_f16_e32 v65, 0x3b47, v58
	v_add_f16_e32 v22, v7, v2
	s_movk_i32 s7, 0x36a6
	v_fma_f16 v29, v22, s7, v65
	v_mul_f16_sdwa v57, v6, v59 dst_sel:DWORD dst_unused:UNUSED_PAD src0_sel:WORD_1 src1_sel:DWORD
	v_add_f16_e32 v28, v29, v28
	v_mul_f16_sdwa v29, v3, v56 dst_sel:DWORD dst_unused:UNUSED_PAD src0_sel:WORD_1 src1_sel:DWORD
	v_fma_f16 v57, v6, v27, v57
	v_mul_f16_sdwa v27, v6, v27 dst_sel:DWORD dst_unused:UNUSED_PAD src0_sel:WORD_1 src1_sel:DWORD
	v_fma_f16 v29, v3, v30, v29
	v_fma_f16 v6, v6, v59, -v27
	v_mul_f16_sdwa v27, v3, v30 dst_sel:DWORD dst_unused:UNUSED_PAD src0_sel:WORD_1 src1_sel:DWORD
	v_sub_f16_e32 v61, v29, v57
	v_fma_f16 v3, v3, v56, -v27
	v_mul_f16_e32 v66, 0xb853, v61
	v_add_f16_e32 v27, v6, v3
	s_movk_i32 s13, 0x3abb
	v_fma_f16 v30, v27, s13, v66
	v_mul_f16_sdwa v56, v5, v60 dst_sel:DWORD dst_unused:UNUSED_PAD src0_sel:WORD_1 src1_sel:DWORD
	v_add_f16_e32 v28, v30, v28
	v_mul_f16_sdwa v30, v4, v54 dst_sel:DWORD dst_unused:UNUSED_PAD src0_sel:WORD_1 src1_sel:DWORD
	v_fma_f16 v56, v5, v26, v56
	v_mul_f16_sdwa v26, v5, v26 dst_sel:DWORD dst_unused:UNUSED_PAD src0_sel:WORD_1 src1_sel:DWORD
	v_fma_f16 v30, v4, v31, v30
	v_fma_f16 v5, v5, v60, -v26
	v_mul_f16_sdwa v26, v4, v31 dst_sel:DWORD dst_unused:UNUSED_PAD src0_sel:WORD_1 src1_sel:DWORD
	v_sub_f16_e32 v59, v30, v56
	v_fma_f16 v4, v4, v54, -v26
	v_mul_f16_e32 v67, 0xba0c, v59
	v_add_f16_e32 v26, v5, v4
	s_mov_b32 s15, 0xb93d
	v_fma_f16 v31, v26, s15, v67
	v_sub_f16_e32 v54, v0, v10
	v_add_f16_e32 v28, v31, v28
	v_add_f16_e32 v31, v52, v46
	v_mul_f16_e32 v60, 0xbbeb, v54
	v_sub_f16_e32 v70, v1, v9
	v_fma_f16 v68, v31, s0, -v60
	v_add_f16_e32 v69, v55, v51
	v_mul_f16_e32 v71, 0x3482, v70
	v_add_f16_e32 v68, v24, v68
	v_fma_f16 v72, v69, s6, -v71
	v_sub_f16_e32 v73, v2, v7
	v_add_f16_e32 v68, v72, v68
	v_add_f16_e32 v72, v50, v49
	v_mul_f16_e32 v74, 0x3b47, v73
	v_fma_f16 v75, v72, s7, -v74
	v_sub_f16_e32 v76, v3, v6
	v_add_f16_e32 v68, v75, v68
	v_add_f16_e32 v75, v57, v29
	v_mul_f16_e32 v77, 0xb853, v76
	;; [unrolled: 5-line block ×3, first 2 shown]
	v_fma_f16 v81, v78, s15, -v80
	v_fma_f16 v62, v25, s0, -v62
	v_add_f16_e32 v68, v81, v68
	v_mul_f16_e32 v81, 0xba0c, v53
	v_add_f16_sdwa v62, v24, v62 dst_sel:DWORD dst_unused:UNUSED_PAD src0_sel:WORD_1 src1_sel:DWORD
	v_fma_f16 v64, v23, s6, -v64
	v_fma_f16 v82, v25, s15, v81
	v_mul_f16_e32 v83, 0x3beb, v63
	v_add_f16_e32 v62, v64, v62
	v_fma_f16 v64, v22, s7, -v65
	v_add_f16_sdwa v82, v24, v82 dst_sel:DWORD dst_unused:UNUSED_PAD src0_sel:WORD_1 src1_sel:DWORD
	v_fma_f16 v84, v23, s0, v83
	v_add_f16_e32 v62, v64, v62
	v_fma_f16 v64, v27, s13, -v66
	v_add_f16_e32 v82, v84, v82
	v_mul_f16_e32 v84, 0xb853, v58
	v_add_f16_e32 v62, v64, v62
	v_fma_f16 v64, v26, s15, -v67
	v_fma_f16 v60, v31, s0, v60
	v_fma_f16 v85, v22, s13, v84
	v_add_f16_e32 v62, v64, v62
	v_add_f16_e32 v60, v24, v60
	v_fma_f16 v64, v69, s6, v71
	v_add_f16_e32 v82, v85, v82
	v_mul_f16_e32 v85, 0xb482, v61
	v_add_f16_e32 v60, v64, v60
	v_fma_f16 v64, v72, s7, v74
	v_fma_f16 v86, v27, s6, v85
	v_add_f16_e32 v60, v64, v60
	v_fma_f16 v64, v75, s13, v77
	v_add_f16_e32 v82, v86, v82
	v_mul_f16_e32 v86, 0x3b47, v59
	v_add_f16_e32 v60, v64, v60
	v_fma_f16 v64, v78, s15, v80
	s_movk_i32 s17, 0x3b47
	v_fma_f16 v87, v26, s7, v86
	v_fma_f16 v81, v25, s15, -v81
	v_add_f16_e32 v60, v64, v60
	v_mul_f16_e32 v64, 0x36a6, v25
	v_add_f16_e32 v82, v87, v82
	v_mul_f16_e32 v87, 0xba0c, v54
	v_add_f16_sdwa v81, v24, v81 dst_sel:DWORD dst_unused:UNUSED_PAD src0_sel:WORD_1 src1_sel:DWORD
	v_fma_f16 v83, v23, s0, -v83
	v_fma_f16 v65, v53, s17, v64
	v_mul_f16_e32 v66, 0xb93d, v23
	s_movk_i32 s21, 0x3a0c
	v_fma_f16 v88, v31, s15, -v87
	v_mul_f16_e32 v89, 0x3beb, v70
	v_add_f16_e32 v81, v83, v81
	v_fma_f16 v83, v22, s13, -v84
	v_add_f16_sdwa v65, v24, v65 dst_sel:DWORD dst_unused:UNUSED_PAD src0_sel:WORD_1 src1_sel:DWORD
	v_fma_f16 v67, v63, s21, v66
	s_mov_b32 s18, 0xb482
	v_add_f16_e32 v88, v24, v88
	v_fma_f16 v90, v69, s0, -v89
	v_add_f16_e32 v81, v83, v81
	v_fma_f16 v83, v27, s6, -v85
	v_add_f16_e32 v65, v67, v65
	v_mul_f16_e32 v67, 0xbbad, v22
	v_add_f16_e32 v88, v90, v88
	v_mul_f16_e32 v90, 0xb853, v73
	v_add_f16_e32 v81, v83, v81
	v_fma_f16 v83, v26, s7, -v86
	v_fma_f16 v71, v58, s18, v67
	s_mov_b32 s1, 0xbbeb
	v_fma_f16 v91, v72, s13, -v90
	v_add_f16_e32 v81, v83, v81
	v_fma_f16 v83, v31, s15, v87
	v_add_f16_e32 v65, v71, v65
	v_mul_f16_e32 v71, 0xb08e, v27
	v_add_f16_e32 v88, v91, v88
	v_mul_f16_e32 v91, 0xb482, v76
	v_add_f16_e32 v83, v24, v83
	v_fma_f16 v84, v69, s0, v89
	v_fma_f16 v74, v61, s1, v71
	s_mov_b32 s14, 0xb853
	v_fma_f16 v92, v75, s6, -v91
	v_add_f16_e32 v83, v84, v83
	v_fma_f16 v84, v72, s13, v90
	v_add_f16_e32 v65, v74, v65
	v_mul_f16_e32 v74, 0x3abb, v26
	s_mov_b32 s22, 0xbb47
	v_add_f16_sdwa v0, v0, v24 dst_sel:DWORD dst_unused:UNUSED_PAD src0_sel:DWORD src1_sel:WORD_1
	s_mov_b32 s16, 0xba0c
	v_add_f16_e32 v88, v92, v88
	v_mul_f16_e32 v92, 0x3b47, v79
	v_add_f16_e32 v83, v84, v83
	v_fma_f16 v84, v75, s6, v91
	v_fma_f16 v77, v59, s14, v74
	v_add_f16_e32 v0, v1, v0
	v_fma_f16 v1, v53, s22, v64
	s_movk_i32 s12, 0x3482
	v_fma_f16 v93, v78, s7, -v92
	v_add_f16_e32 v83, v84, v83
	v_fma_f16 v84, v78, s7, v92
	v_add_f16_e32 v65, v77, v65
	v_mul_f16_e32 v77, 0xbb47, v54
	v_add_f16_e32 v0, v2, v0
	v_add_f16_sdwa v1, v24, v1 dst_sel:DWORD dst_unused:UNUSED_PAD src0_sel:WORD_1 src1_sel:DWORD
	v_fma_f16 v2, v63, s16, v66
	s_movk_i32 s19, 0x3beb
	v_add_f16_e32 v88, v93, v88
	v_mul_f16_e32 v93, 0xb482, v53
	v_add_f16_e32 v83, v84, v83
	v_fma_f16 v80, v31, s7, v77
	v_mul_f16_e32 v84, 0xba0c, v70
	v_add_f16_e32 v1, v2, v1
	v_fma_f16 v2, v58, s12, v67
	v_fma_f16 v94, v25, s6, v93
	s_movk_i32 s20, 0x3853
	v_mul_f16_e32 v95, 0x3853, v63
	v_add_f16_e32 v80, v24, v80
	v_fma_f16 v85, v69, s15, v84
	v_add_f16_e32 v1, v2, v1
	v_fma_f16 v2, v61, s19, v71
	v_add_f16_sdwa v94, v24, v94 dst_sel:DWORD dst_unused:UNUSED_PAD src0_sel:WORD_1 src1_sel:DWORD
	v_fma_f16 v96, v23, s13, v95
	v_add_f16_e32 v80, v85, v80
	v_mul_f16_e32 v85, 0x3482, v73
	v_add_f16_e32 v1, v2, v1
	v_fma_f16 v2, v59, s20, v74
	v_add_f16_e32 v94, v96, v94
	v_mul_f16_e32 v96, 0xba0c, v58
	v_fma_f16 v86, v72, s6, v85
	v_add_f16_e32 v1, v2, v1
	v_fma_f16 v2, v31, s7, -v77
	v_fma_f16 v97, v22, s15, v96
	v_add_f16_e32 v80, v86, v80
	v_mul_f16_e32 v86, 0x3beb, v76
	v_add_f16_e32 v0, v3, v0
	v_add_f16_e32 v2, v24, v2
	v_fma_f16 v3, v69, s15, -v84
	v_add_f16_e32 v94, v97, v94
	v_mul_f16_e32 v97, 0x3b47, v61
	v_fma_f16 v87, v75, s0, v86
	v_add_f16_e32 v2, v3, v2
	v_fma_f16 v3, v72, s6, -v85
	v_fma_f16 v98, v27, s7, v97
	v_add_f16_e32 v80, v87, v80
	v_mul_f16_e32 v87, 0x3853, v79
	v_add_f16_e32 v2, v3, v2
	v_fma_f16 v3, v75, s0, -v86
	v_add_f16_e32 v94, v98, v94
	v_mul_f16_e32 v98, 0xbbeb, v59
	v_fma_f16 v93, v25, s6, -v93
	v_mul_f16_e32 v25, 0x3abb, v25
	v_add_f16_e32 v2, v3, v2
	v_fma_f16 v3, v78, s13, -v87
	v_fma_f16 v99, v26, s0, v98
	v_add_f16_sdwa v93, v24, v93 dst_sel:DWORD dst_unused:UNUSED_PAD src0_sel:WORD_1 src1_sel:DWORD
	v_fma_f16 v95, v23, s13, -v95
	v_fma_f16 v89, v78, s13, v87
	v_mul_f16_e32 v23, 0x36a6, v23
	v_add_f16_e32 v2, v3, v2
	v_fma_f16 v3, v53, s14, v25
	v_add_f16_e32 v94, v99, v94
	v_mul_f16_e32 v99, 0xb482, v54
	v_add_f16_e32 v93, v95, v93
	v_fma_f16 v95, v22, s15, -v96
	v_add_f16_e32 v80, v89, v80
	v_fma_f16 v89, v53, s20, v25
	v_mul_f16_e32 v22, 0xb08e, v22
	v_add_f16_e32 v0, v4, v0
	v_add_f16_sdwa v3, v24, v3 dst_sel:DWORD dst_unused:UNUSED_PAD src0_sel:WORD_1 src1_sel:DWORD
	v_fma_f16 v4, v63, s22, v23
	v_fma_f16 v100, v31, s6, -v99
	v_mul_f16_e32 v101, 0x3853, v70
	v_add_f16_e32 v93, v95, v93
	v_fma_f16 v95, v27, s7, -v97
	v_add_f16_sdwa v89, v24, v89 dst_sel:DWORD dst_unused:UNUSED_PAD src0_sel:WORD_1 src1_sel:DWORD
	v_fma_f16 v90, v63, s17, v23
	v_mul_f16_e32 v27, 0xb93d, v27
	v_add_f16_e32 v46, v24, v46
	v_add_f16_e32 v3, v4, v3
	v_fma_f16 v4, v58, s1, v22
	v_add_f16_e32 v100, v24, v100
	v_fma_f16 v102, v69, s13, -v101
	v_add_f16_e32 v93, v95, v93
	v_fma_f16 v95, v26, s0, -v98
	v_add_f16_e32 v89, v90, v89
	v_fma_f16 v90, v58, s19, v22
	v_mul_f16_e32 v26, 0xbbad, v26
	v_add_f16_e32 v46, v51, v46
	v_add_f16_e32 v3, v4, v3
	v_fma_f16 v4, v61, s16, v27
	v_add_f16_e32 v100, v102, v100
	v_mul_f16_e32 v102, 0xba0c, v73
	v_add_f16_e32 v89, v90, v89
	v_fma_f16 v90, v61, s21, v27
	v_mul_f16_e32 v54, 0xb853, v54
	v_add_f16_e32 v46, v49, v46
	v_add_f16_e32 v3, v4, v3
	v_fma_f16 v4, v59, s18, v26
	v_fma_f16 v103, v72, s15, -v102
	v_add_f16_e32 v89, v90, v89
	v_fma_f16 v90, v59, s12, v26
	v_mul_f16_e32 v70, 0xbb47, v70
	v_add_f16_e32 v29, v29, v46
	v_add_f16_e32 v3, v4, v3
	v_fma_f16 v4, v31, s13, -v54
	v_add_f16_e32 v100, v103, v100
	v_mul_f16_e32 v103, 0x3b47, v76
	v_add_f16_e32 v89, v90, v89
	v_fma_f16 v90, v31, s13, v54
	v_mul_f16_e32 v73, 0xbbeb, v73
	v_add_f16_e32 v29, v30, v29
	v_add_f16_e32 v0, v5, v0
	;; [unrolled: 1-line block ×3, first 2 shown]
	v_fma_f16 v5, v69, s7, -v70
	v_fma_f16 v104, v75, s7, -v103
	v_add_f16_e32 v90, v24, v90
	v_fma_f16 v91, v69, s7, v70
	v_mul_f16_e32 v76, 0xba0c, v76
	v_add_f16_e32 v29, v56, v29
	v_add_f16_e32 v4, v5, v4
	v_fma_f16 v5, v72, s0, -v73
	v_add_f16_e32 v100, v104, v100
	v_mul_f16_e32 v104, 0xbbeb, v79
	v_add_f16_e32 v93, v95, v93
	v_fma_f16 v95, v31, s6, v99
	v_add_f16_e32 v90, v91, v90
	v_fma_f16 v91, v72, s0, v73
	v_mul_f16_e32 v79, 0xb482, v79
	v_add_f16_e32 v29, v57, v29
	v_add_f16_e32 v0, v6, v0
	;; [unrolled: 1-line block ×3, first 2 shown]
	v_fma_f16 v5, v75, s15, -v76
	v_add_f16_e32 v95, v24, v95
	v_fma_f16 v96, v69, s13, v101
	v_add_f16_e32 v90, v91, v90
	v_fma_f16 v91, v75, s15, v76
	v_add_f16_e32 v29, v50, v29
	v_add_f16_e32 v0, v7, v0
	;; [unrolled: 1-line block ×3, first 2 shown]
	v_fma_f16 v5, v78, s6, -v79
	v_add_f16_e32 v95, v96, v95
	v_fma_f16 v96, v72, s15, v102
	v_add_f16_e32 v90, v91, v90
	v_fma_f16 v91, v78, s6, v79
	v_add_f16_e32 v29, v55, v29
	v_add_f16_e32 v0, v9, v0
	;; [unrolled: 1-line block ×3, first 2 shown]
	v_mul_u32_u24_e32 v5, 0x63, v44
	v_add_f16_e32 v95, v96, v95
	v_fma_f16 v96, v75, s7, v103
	v_add_f16_e32 v90, v91, v90
	v_add_f16_e32 v29, v52, v29
	;; [unrolled: 1-line block ×3, first 2 shown]
	v_add_u32_sdwa v5, v5, v45 dst_sel:DWORD dst_unused:UNUSED_PAD src0_sel:DWORD src1_sel:BYTE_0
	v_add_f16_e32 v95, v96, v95
	v_fma_f16 v96, v78, s0, v104
	v_lshl_add_u32 v5, v5, 2, v43
	v_pack_b32_f16 v0, v29, v0
	v_pack_b32_f16 v6, v90, v89
	v_fma_f16 v105, v78, s0, -v104
	v_add_f16_e32 v95, v96, v95
	ds_write2_b32 v5, v0, v6 offset1:9
	v_pack_b32_f16 v0, v80, v65
	v_pack_b32_f16 v6, v60, v62
	v_add_f16_e32 v100, v105, v100
	ds_write2_b32 v5, v0, v6 offset0:18 offset1:27
	v_pack_b32_f16 v0, v83, v81
	v_pack_b32_f16 v6, v95, v93
	ds_write2_b32 v5, v0, v6 offset0:36 offset1:45
	v_pack_b32_f16 v0, v100, v94
	v_pack_b32_f16 v6, v88, v82
	;; [unrolled: 3-line block ×3, first 2 shown]
	ds_write2_b32 v5, v0, v1 offset0:72 offset1:81
	v_pack_b32_f16 v0, v4, v3
	ds_write_b32 v5, v0 offset:360
.LBB0_9:
	s_or_b64 exec, exec, s[4:5]
	v_add_u32_e32 v24, 0x200, v33
	s_waitcnt lgkmcnt(0)
	s_barrier
	ds_read2_b32 v[5:6], v24 offset0:70 offset1:169
	v_add_u32_e32 v1, 0x800, v33
	ds_read2_b32 v[9:10], v1 offset0:82 offset1:181
	v_add_u32_e32 v2, 0x400, v33
	ds_read2_b32 v[22:23], v2 offset0:140 offset1:239
	s_waitcnt lgkmcnt(2)
	v_lshrrev_b32_e32 v7, 16, v6
	v_mul_f16_sdwa v44, v11, v7 dst_sel:DWORD dst_unused:UNUSED_PAD src0_sel:WORD_1 src1_sel:DWORD
	s_waitcnt lgkmcnt(1)
	v_lshrrev_b32_e32 v25, 16, v9
	v_fma_f16 v44, v11, v6, v44
	v_mul_f16_sdwa v6, v11, v6 dst_sel:DWORD dst_unused:UNUSED_PAD src0_sel:WORD_1 src1_sel:DWORD
	v_fma_f16 v6, v11, v7, -v6
	v_mul_f16_sdwa v7, v12, v25 dst_sel:DWORD dst_unused:UNUSED_PAD src0_sel:WORD_1 src1_sel:DWORD
	s_waitcnt lgkmcnt(0)
	v_lshrrev_b32_e32 v28, 16, v22
	v_fma_f16 v7, v12, v9, v7
	v_mul_f16_sdwa v9, v12, v9 dst_sel:DWORD dst_unused:UNUSED_PAD src0_sel:WORD_1 src1_sel:DWORD
	ds_read_b32 v27, v33 offset:3168
	v_fma_f16 v9, v12, v25, -v9
	v_mul_f16_sdwa v25, v11, v28 dst_sel:DWORD dst_unused:UNUSED_PAD src0_sel:WORD_1 src1_sel:DWORD
	v_lshrrev_b32_e32 v29, 16, v10
	v_fma_f16 v25, v11, v22, v25
	v_mul_f16_sdwa v22, v11, v22 dst_sel:DWORD dst_unused:UNUSED_PAD src0_sel:WORD_1 src1_sel:DWORD
	v_fma_f16 v11, v11, v28, -v22
	v_mul_f16_sdwa v22, v12, v29 dst_sel:DWORD dst_unused:UNUSED_PAD src0_sel:WORD_1 src1_sel:DWORD
	ds_read2_b32 v[3:4], v33 offset1:99
	v_lshrrev_b32_e32 v31, 16, v23
	v_fma_f16 v22, v12, v10, v22
	v_mul_f16_sdwa v10, v12, v10 dst_sel:DWORD dst_unused:UNUSED_PAD src0_sel:WORD_1 src1_sel:DWORD
	v_fma_f16 v10, v12, v29, -v10
	v_mul_f16_sdwa v12, v13, v31 dst_sel:DWORD dst_unused:UNUSED_PAD src0_sel:WORD_1 src1_sel:DWORD
	s_waitcnt lgkmcnt(1)
	v_lshrrev_b32_e32 v43, 16, v27
	v_fma_f16 v12, v13, v23, v12
	v_mul_f16_sdwa v23, v13, v23 dst_sel:DWORD dst_unused:UNUSED_PAD src0_sel:WORD_1 src1_sel:DWORD
	v_fma_f16 v13, v13, v31, -v23
	v_mul_f16_sdwa v23, v14, v43 dst_sel:DWORD dst_unused:UNUSED_PAD src0_sel:WORD_1 src1_sel:DWORD
	v_fma_f16 v23, v14, v27, v23
	v_mul_f16_sdwa v27, v14, v27 dst_sel:DWORD dst_unused:UNUSED_PAD src0_sel:WORD_1 src1_sel:DWORD
	v_add_f16_e32 v28, v44, v7
	s_waitcnt lgkmcnt(0)
	v_lshrrev_b32_e32 v0, 16, v3
	v_fma_f16 v14, v14, v43, -v27
	v_add_f16_e32 v27, v3, v44
	v_fma_f16 v3, v28, -0.5, v3
	v_sub_f16_e32 v28, v6, v9
	s_mov_b32 s0, 0xbaee
	s_movk_i32 s1, 0x3aee
	v_fma_f16 v29, v28, s0, v3
	v_fma_f16 v3, v28, s1, v3
	v_add_f16_e32 v28, v0, v6
	v_add_f16_e32 v6, v6, v9
	;; [unrolled: 1-line block ×3, first 2 shown]
	v_fma_f16 v0, v6, -0.5, v0
	v_sub_f16_e32 v6, v44, v7
	v_add_f16_e32 v9, v25, v22
	v_lshrrev_b32_e32 v26, 16, v4
	v_add_f16_e32 v27, v27, v7
	v_fma_f16 v7, v6, s1, v0
	v_fma_f16 v0, v6, s0, v0
	v_add_f16_e32 v6, v4, v25
	v_fma_f16 v4, v9, -0.5, v4
	v_sub_f16_e32 v9, v11, v10
	v_fma_f16 v31, v9, s0, v4
	v_fma_f16 v4, v9, s1, v4
	v_add_f16_e32 v9, v26, v11
	v_add_f16_e32 v9, v9, v10
	;; [unrolled: 1-line block ×3, first 2 shown]
	v_fma_f16 v10, v10, -0.5, v26
	v_sub_f16_e32 v11, v25, v22
	v_add_f16_e32 v25, v12, v23
	v_lshrrev_b32_e32 v30, 16, v5
	v_add_f16_e32 v6, v6, v22
	v_fma_f16 v22, v11, s1, v10
	v_fma_f16 v10, v11, s0, v10
	v_add_f16_e32 v11, v5, v12
	v_fma_f16 v5, v25, -0.5, v5
	v_sub_f16_e32 v25, v13, v14
	v_fma_f16 v26, v25, s0, v5
	v_fma_f16 v5, v25, s1, v5
	v_add_f16_e32 v25, v30, v13
	v_add_f16_e32 v13, v13, v14
	v_fma_f16 v13, v13, -0.5, v30
	v_sub_f16_e32 v12, v12, v23
	v_pack_b32_f16 v0, v3, v0
	v_pack_b32_f16 v3, v6, v9
	v_add_f16_e32 v11, v11, v23
	v_add_f16_e32 v25, v25, v14
	v_fma_f16 v14, v12, s1, v13
	s_barrier
	ds_write2_b32 v24, v0, v3 offset0:70 offset1:169
	v_pack_b32_f16 v0, v31, v22
	v_pack_b32_f16 v3, v4, v10
	v_fma_f16 v12, v12, s0, v13
	v_pack_b32_f16 v13, v27, v28
	v_pack_b32_f16 v7, v29, v7
	ds_write2_b32 v2, v0, v3 offset0:140 offset1:239
	v_pack_b32_f16 v0, v11, v25
	v_pack_b32_f16 v3, v26, v14
	v_add_u32_e32 v4, 0x800, v47
	ds_write2_b32 v33, v13, v7 offset1:99
	ds_write2_b32 v4, v0, v3 offset0:82 offset1:181
	v_pack_b32_f16 v0, v5, v12
	ds_write_b32 v47, v0 offset:3168
	s_waitcnt lgkmcnt(0)
	s_barrier
	ds_read2_b32 v[3:4], v33 offset1:99
	ds_read2_b32 v[5:6], v24 offset0:70 offset1:169
	ds_read2_b32 v[9:10], v1 offset0:82 offset1:181
	;; [unrolled: 1-line block ×3, first 2 shown]
	ds_read_b32 v22, v33 offset:3168
	s_waitcnt lgkmcnt(4)
	v_lshrrev_b32_e32 v0, 16, v3
	s_waitcnt lgkmcnt(3)
	v_lshrrev_b32_e32 v7, 16, v6
	v_mul_f16_sdwa v29, v15, v7 dst_sel:DWORD dst_unused:UNUSED_PAD src0_sel:WORD_1 src1_sel:DWORD
	s_waitcnt lgkmcnt(2)
	v_lshrrev_b32_e32 v13, 16, v9
	v_fma_f16 v29, v15, v6, v29
	v_mul_f16_sdwa v6, v15, v6 dst_sel:DWORD dst_unused:UNUSED_PAD src0_sel:WORD_1 src1_sel:DWORD
	v_fma_f16 v6, v15, v7, -v6
	v_mul_f16_sdwa v7, v16, v13 dst_sel:DWORD dst_unused:UNUSED_PAD src0_sel:WORD_1 src1_sel:DWORD
	s_waitcnt lgkmcnt(1)
	v_lshrrev_b32_e32 v23, 16, v11
	v_lshrrev_b32_e32 v25, 16, v10
	v_fma_f16 v7, v16, v9, v7
	v_mul_f16_sdwa v9, v16, v9 dst_sel:DWORD dst_unused:UNUSED_PAD src0_sel:WORD_1 src1_sel:DWORD
	v_fma_f16 v9, v16, v13, -v9
	v_mul_f16_sdwa v13, v17, v23 dst_sel:DWORD dst_unused:UNUSED_PAD src0_sel:WORD_1 src1_sel:DWORD
	v_mul_f16_sdwa v15, v18, v25 dst_sel:DWORD dst_unused:UNUSED_PAD src0_sel:WORD_1 src1_sel:DWORD
	v_lshrrev_b32_e32 v27, 16, v12
	s_waitcnt lgkmcnt(0)
	v_lshrrev_b32_e32 v28, 16, v22
	v_fma_f16 v13, v17, v11, v13
	v_mul_f16_sdwa v11, v17, v11 dst_sel:DWORD dst_unused:UNUSED_PAD src0_sel:WORD_1 src1_sel:DWORD
	v_fma_f16 v15, v18, v10, v15
	v_mul_f16_sdwa v10, v18, v10 dst_sel:DWORD dst_unused:UNUSED_PAD src0_sel:WORD_1 src1_sel:DWORD
	v_fma_f16 v11, v17, v23, -v11
	v_fma_f16 v10, v18, v25, -v10
	v_mul_f16_sdwa v16, v19, v27 dst_sel:DWORD dst_unused:UNUSED_PAD src0_sel:WORD_1 src1_sel:DWORD
	v_mul_f16_sdwa v17, v20, v28 dst_sel:DWORD dst_unused:UNUSED_PAD src0_sel:WORD_1 src1_sel:DWORD
	v_mul_f16_sdwa v18, v20, v22 dst_sel:DWORD dst_unused:UNUSED_PAD src0_sel:WORD_1 src1_sel:DWORD
	v_fma_f16 v16, v19, v12, v16
	v_mul_f16_sdwa v12, v19, v12 dst_sel:DWORD dst_unused:UNUSED_PAD src0_sel:WORD_1 src1_sel:DWORD
	v_fma_f16 v17, v20, v22, v17
	v_fma_f16 v18, v20, v28, -v18
	v_add_f16_e32 v20, v29, v7
	v_fma_f16 v12, v19, v27, -v12
	v_add_f16_e32 v19, v3, v29
	v_fma_f16 v3, v20, -0.5, v3
	v_sub_f16_e32 v20, v6, v9
	v_fma_f16 v22, v20, s0, v3
	v_fma_f16 v3, v20, s1, v3
	v_add_f16_e32 v20, v0, v6
	v_add_f16_e32 v6, v6, v9
	;; [unrolled: 1-line block ×3, first 2 shown]
	v_fma_f16 v0, v6, -0.5, v0
	v_sub_f16_e32 v6, v29, v7
	v_add_f16_e32 v9, v13, v15
	v_lshrrev_b32_e32 v14, 16, v4
	v_add_f16_e32 v19, v19, v7
	v_fma_f16 v7, v6, s1, v0
	v_fma_f16 v0, v6, s0, v0
	v_add_f16_e32 v6, v4, v13
	v_fma_f16 v4, v9, -0.5, v4
	v_sub_f16_e32 v9, v11, v10
	v_fma_f16 v23, v9, s0, v4
	v_fma_f16 v4, v9, s1, v4
	v_add_f16_e32 v9, v14, v11
	v_add_f16_e32 v9, v9, v10
	v_add_f16_e32 v10, v11, v10
	v_fma_f16 v10, v10, -0.5, v14
	v_sub_f16_e32 v11, v13, v15
	v_add_f16_e32 v14, v16, v17
	v_lshrrev_b32_e32 v26, 16, v5
	v_fma_f16 v13, v11, s1, v10
	v_fma_f16 v10, v11, s0, v10
	v_add_f16_e32 v11, v5, v16
	v_fma_f16 v5, v14, -0.5, v5
	v_sub_f16_e32 v14, v12, v18
	v_add_f16_e32 v6, v6, v15
	v_fma_f16 v15, v14, s0, v5
	v_fma_f16 v5, v14, s1, v5
	v_add_f16_e32 v14, v26, v12
	v_add_f16_e32 v12, v12, v18
	v_fma_f16 v12, v12, -0.5, v26
	v_sub_f16_e32 v16, v16, v17
	v_pack_b32_f16 v0, v3, v0
	v_add_f16_e32 v11, v11, v17
	v_fma_f16 v17, v16, s1, v12
	v_fma_f16 v12, v16, s0, v12
	v_pack_b32_f16 v16, v19, v20
	ds_write_b32 v33, v0 offset:2376
	v_pack_b32_f16 v0, v6, v9
	v_pack_b32_f16 v7, v22, v7
	ds_write2_b32 v33, v16, v0 offset1:99
	v_pack_b32_f16 v0, v23, v13
	v_add_f16_e32 v14, v14, v18
	ds_write_b32 v33, v7 offset:1188
	ds_write_b32 v48, v0 offset:1584
	v_pack_b32_f16 v0, v4, v10
	ds_write_b32 v48, v0 offset:2772
	v_pack_b32_f16 v0, v11, v14
	;; [unrolled: 2-line block ×4, first 2 shown]
	ds_write_b32 v21, v0 offset:2376
	s_waitcnt lgkmcnt(0)
	s_barrier
	ds_read2_b32 v[3:4], v33 offset1:99
	s_mov_b32 s4, 0x7210aa18
	s_mov_b32 s5, 0x3f526369
	v_mad_u64_u32 v[5:6], s[0:1], s10, v8, 0
	s_waitcnt lgkmcnt(0)
	v_lshrrev_b32_e32 v11, 16, v3
	v_mul_f16_sdwa v0, v42, v11 dst_sel:DWORD dst_unused:UNUSED_PAD src0_sel:WORD_1 src1_sel:DWORD
	v_fma_f16 v0, v42, v3, v0
	v_cvt_f32_f16_e32 v0, v0
	s_movk_i32 s6, 0x1ff
	s_movk_i32 s7, 0xffe
	v_mul_f16_sdwa v3, v42, v3 dst_sel:DWORD dst_unused:UNUSED_PAD src0_sel:WORD_1 src1_sel:DWORD
	v_cvt_f64_f32_e32 v[9:10], v0
	v_mov_b32_e32 v0, v6
	v_mad_u64_u32 v[6:7], s[0:1], s11, v8, v[0:1]
	v_mul_f64 v[9:10], v[9:10], s[4:5]
	v_fma_f16 v3, v42, v11, -v3
	v_cvt_f32_f16_e32 v3, v3
	s_movk_i32 s10, 0x40f
	s_mov_b32 s11, 0x8000
	v_lshlrev_b64 v[5:6], 2, v[5:6]
	v_and_or_b32 v0, v10, s6, v9
	v_cmp_ne_u32_e32 vcc, 0, v0
	v_cndmask_b32_e64 v0, 0, 1, vcc
	v_lshrrev_b32_e32 v7, 8, v10
	v_and_or_b32 v9, v7, s7, v0
	v_bfe_u32 v7, v10, 20, 11
	v_sub_u32_e32 v8, 0x3f1, v7
	v_or_b32_e32 v0, 0x1000, v9
	v_med3_i32 v8, v8, 0, 13
	v_lshrrev_b32_e32 v12, v8, v0
	v_lshlrev_b32_e32 v8, v8, v12
	v_cmp_ne_u32_e32 vcc, v8, v0
	v_cndmask_b32_e64 v0, 0, 1, vcc
	v_or_b32_e32 v0, v12, v0
	v_add_u32_e32 v12, 0xfffffc10, v7
	v_lshl_or_b32 v7, v12, 12, v9
	v_cmp_gt_i32_e32 vcc, 1, v12
	v_cndmask_b32_e32 v0, v7, v0, vcc
	v_and_b32_e32 v7, 7, v0
	v_cmp_lt_i32_e32 vcc, 5, v7
	v_cmp_eq_u32_e64 s[0:1], 3, v7
	v_cvt_f64_f32_e32 v[7:8], v3
	v_lshrrev_b32_e32 v0, 2, v0
	s_or_b64 vcc, s[0:1], vcc
	v_addc_co_u32_e32 v11, vcc, 0, v0, vcc
	v_mul_f64 v[7:8], v[7:8], s[4:5]
	v_mov_b32_e32 v0, 0x7c00
	v_cmp_gt_i32_e32 vcc, 31, v12
	v_cndmask_b32_e32 v3, v0, v11, vcc
	v_cmp_ne_u32_e32 vcc, 0, v9
	v_cndmask_b32_e64 v9, 0, 1, vcc
	v_lshl_or_b32 v9, v9, 9, v0
	v_cmp_eq_u32_e32 vcc, s10, v12
	v_cndmask_b32_e32 v3, v3, v9, vcc
	v_lshrrev_b32_e32 v9, 16, v10
	v_and_or_b32 v11, v9, s11, v3
	v_and_or_b32 v3, v8, s6, v7
	v_cmp_ne_u32_e32 vcc, 0, v3
	v_cndmask_b32_e64 v3, 0, 1, vcc
	v_lshrrev_b32_e32 v7, 8, v8
	v_bfe_u32 v9, v8, 20, 11
	v_and_or_b32 v3, v7, s7, v3
	v_sub_u32_e32 v10, 0x3f1, v9
	v_or_b32_e32 v7, 0x1000, v3
	v_med3_i32 v10, v10, 0, 13
	v_lshrrev_b32_e32 v12, v10, v7
	v_lshlrev_b32_e32 v10, v10, v12
	v_cmp_ne_u32_e32 vcc, v10, v7
	v_cndmask_b32_e64 v7, 0, 1, vcc
	v_or_b32_e32 v7, v12, v7
	v_add_u32_e32 v12, 0xfffffc10, v9
	v_lshl_or_b32 v9, v12, 12, v3
	v_cmp_gt_i32_e32 vcc, 1, v12
	v_cndmask_b32_e32 v7, v9, v7, vcc
	v_and_b32_e32 v9, 7, v7
	v_cmp_lt_i32_e32 vcc, 5, v9
	v_cmp_eq_u32_e64 s[0:1], 3, v9
	v_lshrrev_b32_e32 v7, 2, v7
	s_or_b64 vcc, s[0:1], vcc
	v_addc_co_u32_e32 v7, vcc, 0, v7, vcc
	v_cmp_gt_i32_e32 vcc, 31, v12
	v_mad_u64_u32 v[9:10], s[0:1], s8, v41, 0
	v_cndmask_b32_e32 v7, v0, v7, vcc
	v_cmp_ne_u32_e32 vcc, 0, v3
	v_cndmask_b32_e64 v3, 0, 1, vcc
	v_lshl_or_b32 v3, v3, 9, v0
	v_cmp_eq_u32_e32 vcc, s10, v12
	v_cndmask_b32_e32 v12, v7, v3, vcc
	v_mov_b32_e32 v3, v10
	v_lshrrev_b32_e32 v13, 16, v8
	v_mad_u64_u32 v[7:8], s[0:1], s9, v41, v[3:4]
	v_lshrrev_b32_e32 v3, 16, v4
	v_mul_f16_sdwa v8, v40, v3 dst_sel:DWORD dst_unused:UNUSED_PAD src0_sel:WORD_1 src1_sel:DWORD
	v_fma_f16 v8, v40, v4, v8
	v_cvt_f32_f16_e32 v8, v8
	v_mov_b32_e32 v10, v7
	v_and_or_b32 v12, v13, s11, v12
	v_and_b32_e32 v11, 0xffff, v11
	v_cvt_f64_f32_e32 v[7:8], v8
	v_lshl_or_b32 v11, v12, 16, v11
	v_mov_b32_e32 v12, s3
	v_add_co_u32_e32 v13, vcc, s2, v5
	v_mul_f64 v[7:8], v[7:8], s[4:5]
	v_addc_co_u32_e32 v12, vcc, v12, v6, vcc
	v_lshlrev_b64 v[5:6], 2, v[9:10]
	v_mul_f16_sdwa v4, v40, v4 dst_sel:DWORD dst_unused:UNUSED_PAD src0_sel:WORD_1 src1_sel:DWORD
	v_add_co_u32_e32 v5, vcc, v13, v5
	v_addc_co_u32_e32 v6, vcc, v12, v6, vcc
	v_and_or_b32 v7, v8, s6, v7
	v_cmp_ne_u32_e32 vcc, 0, v7
	v_fma_f16 v3, v40, v3, -v4
	v_cndmask_b32_e64 v7, 0, 1, vcc
	v_lshrrev_b32_e32 v9, 8, v8
	v_bfe_u32 v10, v8, 20, 11
	v_cvt_f32_f16_e32 v3, v3
	global_store_dword v[5:6], v11, off
	v_and_or_b32 v7, v9, s7, v7
	v_sub_u32_e32 v11, 0x3f1, v10
	v_or_b32_e32 v9, 0x1000, v7
	v_med3_i32 v11, v11, 0, 13
	v_lshrrev_b32_e32 v12, v11, v9
	v_lshlrev_b32_e32 v11, v11, v12
	v_cvt_f64_f32_e32 v[3:4], v3
	v_cmp_ne_u32_e32 vcc, v11, v9
	v_cndmask_b32_e64 v9, 0, 1, vcc
	v_add_u32_e32 v10, 0xfffffc10, v10
	v_or_b32_e32 v9, v12, v9
	v_lshl_or_b32 v11, v10, 12, v7
	v_cmp_gt_i32_e32 vcc, 1, v10
	v_cndmask_b32_e32 v9, v11, v9, vcc
	v_mul_f64 v[3:4], v[3:4], s[4:5]
	v_and_b32_e32 v11, 7, v9
	v_cmp_lt_i32_e32 vcc, 5, v11
	v_cmp_eq_u32_e64 s[0:1], 3, v11
	v_lshrrev_b32_e32 v9, 2, v9
	s_or_b64 vcc, s[0:1], vcc
	v_addc_co_u32_e32 v9, vcc, 0, v9, vcc
	v_cmp_gt_i32_e32 vcc, 31, v10
	v_cndmask_b32_e32 v9, v0, v9, vcc
	v_cmp_ne_u32_e32 vcc, 0, v7
	v_cndmask_b32_e64 v7, 0, 1, vcc
	v_lshl_or_b32 v7, v7, 9, v0
	v_cmp_eq_u32_e32 vcc, s10, v10
	v_and_or_b32 v3, v4, s6, v3
	v_cndmask_b32_e32 v7, v9, v7, vcc
	v_lshrrev_b32_e32 v8, 16, v8
	v_cmp_ne_u32_e32 vcc, 0, v3
	v_and_or_b32 v9, v8, s11, v7
	v_cndmask_b32_e64 v3, 0, 1, vcc
	v_lshrrev_b32_e32 v7, 8, v4
	v_bfe_u32 v8, v4, 20, 11
	v_and_or_b32 v3, v7, s7, v3
	v_sub_u32_e32 v10, 0x3f1, v8
	v_or_b32_e32 v7, 0x1000, v3
	v_med3_i32 v10, v10, 0, 13
	v_lshrrev_b32_e32 v11, v10, v7
	v_lshlrev_b32_e32 v10, v10, v11
	v_cmp_ne_u32_e32 vcc, v10, v7
	v_cndmask_b32_e64 v7, 0, 1, vcc
	v_add_u32_e32 v10, 0xfffffc10, v8
	v_or_b32_e32 v7, v11, v7
	v_lshl_or_b32 v8, v10, 12, v3
	v_cmp_gt_i32_e32 vcc, 1, v10
	v_cndmask_b32_e32 v7, v8, v7, vcc
	v_and_b32_e32 v8, 7, v7
	v_cmp_lt_i32_e32 vcc, 5, v8
	v_cmp_eq_u32_e64 s[0:1], 3, v8
	v_lshrrev_b32_e32 v7, 2, v7
	s_or_b64 vcc, s[0:1], vcc
	v_addc_co_u32_e32 v7, vcc, 0, v7, vcc
	v_cmp_gt_i32_e32 vcc, 31, v10
	v_cndmask_b32_e32 v11, v0, v7, vcc
	ds_read2_b32 v[7:8], v24 offset0:70 offset1:169
	v_cmp_ne_u32_e32 vcc, 0, v3
	v_cndmask_b32_e64 v3, 0, 1, vcc
	v_lshl_or_b32 v3, v3, 9, v0
	v_cmp_eq_u32_e32 vcc, s10, v10
	s_waitcnt lgkmcnt(0)
	v_lshrrev_b32_e32 v10, 16, v7
	v_cndmask_b32_e32 v3, v11, v3, vcc
	v_mul_f16_sdwa v11, v39, v10 dst_sel:DWORD dst_unused:UNUSED_PAD src0_sel:WORD_1 src1_sel:DWORD
	v_fma_f16 v11, v39, v7, v11
	v_cvt_f32_f16_e32 v11, v11
	v_lshrrev_b32_e32 v4, 16, v4
	v_and_or_b32 v3, v4, s11, v3
	v_and_b32_e32 v4, 0xffff, v9
	v_lshl_or_b32 v9, v3, 16, v4
	v_cvt_f64_f32_e32 v[3:4], v11
	s_mul_i32 s0, s9, 0x18c
	s_mul_hi_u32 s2, s8, 0x18c
	s_add_i32 s2, s2, s0
	v_mul_f64 v[3:4], v[3:4], s[4:5]
	s_mul_i32 s3, s8, 0x18c
	v_mov_b32_e32 v11, s2
	v_add_co_u32_e32 v5, vcc, s3, v5
	v_addc_co_u32_e32 v6, vcc, v6, v11, vcc
	global_store_dword v[5:6], v9, off
	v_and_or_b32 v3, v4, s6, v3
	v_cmp_ne_u32_e32 vcc, 0, v3
	v_cndmask_b32_e64 v3, 0, 1, vcc
	v_lshrrev_b32_e32 v9, 8, v4
	v_bfe_u32 v11, v4, 20, 11
	v_and_or_b32 v3, v9, s7, v3
	v_sub_u32_e32 v12, 0x3f1, v11
	v_or_b32_e32 v9, 0x1000, v3
	v_med3_i32 v12, v12, 0, 13
	v_lshrrev_b32_e32 v13, v12, v9
	v_lshlrev_b32_e32 v12, v12, v13
	v_mul_f16_sdwa v7, v39, v7 dst_sel:DWORD dst_unused:UNUSED_PAD src0_sel:WORD_1 src1_sel:DWORD
	v_cmp_ne_u32_e32 vcc, v12, v9
	v_fma_f16 v7, v39, v10, -v7
	v_cndmask_b32_e64 v9, 0, 1, vcc
	v_add_u32_e32 v11, 0xfffffc10, v11
	v_cvt_f32_f16_e32 v7, v7
	v_or_b32_e32 v9, v13, v9
	v_lshl_or_b32 v12, v11, 12, v3
	v_cmp_gt_i32_e32 vcc, 1, v11
	v_cndmask_b32_e32 v9, v12, v9, vcc
	v_and_b32_e32 v12, 7, v9
	v_cmp_lt_i32_e32 vcc, 5, v12
	v_cmp_eq_u32_e64 s[0:1], 3, v12
	v_lshrrev_b32_e32 v12, 2, v9
	v_cvt_f64_f32_e32 v[9:10], v7
	s_or_b64 vcc, s[0:1], vcc
	v_addc_co_u32_e32 v7, vcc, 0, v12, vcc
	v_mul_f64 v[9:10], v[9:10], s[4:5]
	v_cmp_gt_i32_e32 vcc, 31, v11
	v_cndmask_b32_e32 v7, v0, v7, vcc
	v_cmp_ne_u32_e32 vcc, 0, v3
	v_cndmask_b32_e64 v3, 0, 1, vcc
	v_lshl_or_b32 v3, v3, 9, v0
	v_cmp_eq_u32_e32 vcc, s10, v11
	v_cndmask_b32_e32 v3, v7, v3, vcc
	v_lshrrev_b32_e32 v4, 16, v4
	v_and_or_b32 v7, v4, s11, v3
	v_and_or_b32 v3, v10, s6, v9
	v_cmp_ne_u32_e32 vcc, 0, v3
	v_cndmask_b32_e64 v3, 0, 1, vcc
	v_lshrrev_b32_e32 v4, 8, v10
	v_bfe_u32 v9, v10, 20, 11
	v_and_or_b32 v3, v4, s7, v3
	v_sub_u32_e32 v11, 0x3f1, v9
	v_or_b32_e32 v4, 0x1000, v3
	v_med3_i32 v11, v11, 0, 13
	v_lshrrev_b32_e32 v12, v11, v4
	v_lshlrev_b32_e32 v11, v11, v12
	v_cmp_ne_u32_e32 vcc, v11, v4
	v_cndmask_b32_e64 v4, 0, 1, vcc
	v_add_u32_e32 v9, 0xfffffc10, v9
	v_or_b32_e32 v4, v12, v4
	v_lshl_or_b32 v11, v9, 12, v3
	v_cmp_gt_i32_e32 vcc, 1, v9
	v_cndmask_b32_e32 v4, v11, v4, vcc
	v_and_b32_e32 v11, 7, v4
	v_cmp_lt_i32_e32 vcc, 5, v11
	v_cmp_eq_u32_e64 s[0:1], 3, v11
	v_lshrrev_b32_e32 v11, 16, v8
	v_lshrrev_b32_e32 v4, 2, v4
	s_or_b64 vcc, s[0:1], vcc
	v_mul_f16_sdwa v12, v38, v11 dst_sel:DWORD dst_unused:UNUSED_PAD src0_sel:WORD_1 src1_sel:DWORD
	v_addc_co_u32_e32 v4, vcc, 0, v4, vcc
	v_fma_f16 v12, v38, v8, v12
	v_cmp_gt_i32_e32 vcc, 31, v9
	v_cvt_f32_f16_e32 v12, v12
	v_cndmask_b32_e32 v4, v0, v4, vcc
	v_cmp_ne_u32_e32 vcc, 0, v3
	v_cndmask_b32_e64 v3, 0, 1, vcc
	v_lshl_or_b32 v3, v3, 9, v0
	v_cmp_eq_u32_e32 vcc, s10, v9
	v_cndmask_b32_e32 v9, v4, v3, vcc
	v_cvt_f64_f32_e32 v[3:4], v12
	v_lshrrev_b32_e32 v10, 16, v10
	v_and_or_b32 v9, v10, s11, v9
	v_and_b32_e32 v7, 0xffff, v7
	v_mul_f64 v[3:4], v[3:4], s[4:5]
	v_lshl_or_b32 v7, v9, 16, v7
	v_mov_b32_e32 v9, s2
	v_add_co_u32_e32 v5, vcc, s3, v5
	v_addc_co_u32_e32 v6, vcc, v6, v9, vcc
	global_store_dword v[5:6], v7, off
	v_and_or_b32 v3, v4, s6, v3
	v_cmp_ne_u32_e32 vcc, 0, v3
	v_cndmask_b32_e64 v3, 0, 1, vcc
	v_lshrrev_b32_e32 v7, 8, v4
	v_bfe_u32 v9, v4, 20, 11
	v_and_or_b32 v3, v7, s7, v3
	v_sub_u32_e32 v10, 0x3f1, v9
	v_or_b32_e32 v7, 0x1000, v3
	v_med3_i32 v10, v10, 0, 13
	v_lshrrev_b32_e32 v12, v10, v7
	v_lshlrev_b32_e32 v10, v10, v12
	v_mul_f16_sdwa v8, v38, v8 dst_sel:DWORD dst_unused:UNUSED_PAD src0_sel:WORD_1 src1_sel:DWORD
	v_cmp_ne_u32_e32 vcc, v10, v7
	v_fma_f16 v8, v38, v11, -v8
	v_cndmask_b32_e64 v7, 0, 1, vcc
	v_add_u32_e32 v9, 0xfffffc10, v9
	v_cvt_f32_f16_e32 v8, v8
	v_or_b32_e32 v7, v12, v7
	v_lshl_or_b32 v10, v9, 12, v3
	v_cmp_gt_i32_e32 vcc, 1, v9
	v_cndmask_b32_e32 v7, v10, v7, vcc
	v_and_b32_e32 v10, 7, v7
	v_cmp_lt_i32_e32 vcc, 5, v10
	v_cmp_eq_u32_e64 s[0:1], 3, v10
	v_lshrrev_b32_e32 v10, 2, v7
	v_cvt_f64_f32_e32 v[7:8], v8
	s_or_b64 vcc, s[0:1], vcc
	v_addc_co_u32_e32 v10, vcc, 0, v10, vcc
	v_mul_f64 v[7:8], v[7:8], s[4:5]
	v_cmp_gt_i32_e32 vcc, 31, v9
	v_cndmask_b32_e32 v10, v0, v10, vcc
	v_cmp_ne_u32_e32 vcc, 0, v3
	v_cndmask_b32_e64 v3, 0, 1, vcc
	v_lshl_or_b32 v3, v3, 9, v0
	v_cmp_eq_u32_e32 vcc, s10, v9
	v_cndmask_b32_e32 v3, v10, v3, vcc
	v_lshrrev_b32_e32 v4, 16, v4
	v_and_or_b32 v4, v4, s11, v3
	v_and_or_b32 v3, v8, s6, v7
	v_cmp_ne_u32_e32 vcc, 0, v3
	v_cndmask_b32_e64 v3, 0, 1, vcc
	v_lshrrev_b32_e32 v7, 8, v8
	v_bfe_u32 v9, v8, 20, 11
	v_and_or_b32 v7, v7, s7, v3
	v_sub_u32_e32 v10, 0x3f1, v9
	v_or_b32_e32 v3, 0x1000, v7
	v_med3_i32 v10, v10, 0, 13
	v_lshrrev_b32_e32 v11, v10, v3
	v_lshlrev_b32_e32 v10, v10, v11
	v_cmp_ne_u32_e32 vcc, v10, v3
	v_cndmask_b32_e64 v3, 0, 1, vcc
	v_add_u32_e32 v9, 0xfffffc10, v9
	v_or_b32_e32 v3, v11, v3
	v_lshl_or_b32 v10, v9, 12, v7
	v_cmp_gt_i32_e32 vcc, 1, v9
	v_cndmask_b32_e32 v3, v10, v3, vcc
	v_and_b32_e32 v10, 7, v3
	v_cmp_lt_i32_e32 vcc, 5, v10
	v_cmp_eq_u32_e64 s[0:1], 3, v10
	v_lshrrev_b32_e32 v3, 2, v3
	s_or_b64 vcc, s[0:1], vcc
	v_addc_co_u32_e32 v10, vcc, 0, v3, vcc
	ds_read2_b32 v[2:3], v2 offset0:140 offset1:239
	v_cmp_gt_i32_e32 vcc, 31, v9
	v_cndmask_b32_e32 v10, v0, v10, vcc
	v_cmp_ne_u32_e32 vcc, 0, v7
	v_cndmask_b32_e64 v7, 0, 1, vcc
	s_waitcnt lgkmcnt(0)
	v_lshrrev_b32_e32 v11, 16, v2
	v_mul_f16_sdwa v12, v37, v11 dst_sel:DWORD dst_unused:UNUSED_PAD src0_sel:WORD_1 src1_sel:DWORD
	v_fma_f16 v12, v37, v2, v12
	v_cvt_f32_f16_e32 v12, v12
	v_lshl_or_b32 v7, v7, 9, v0
	v_cmp_eq_u32_e32 vcc, s10, v9
	v_cndmask_b32_e32 v7, v10, v7, vcc
	v_cvt_f64_f32_e32 v[9:10], v12
	v_lshrrev_b32_e32 v8, 16, v8
	v_and_or_b32 v12, v8, s11, v7
	v_and_b32_e32 v4, 0xffff, v4
	v_mul_f64 v[7:8], v[9:10], s[4:5]
	v_lshl_or_b32 v9, v12, 16, v4
	v_mov_b32_e32 v10, s2
	v_add_co_u32_e32 v4, vcc, s3, v5
	v_addc_co_u32_e32 v5, vcc, v6, v10, vcc
	global_store_dword v[4:5], v9, off
	v_and_or_b32 v6, v8, s6, v7
	v_cmp_ne_u32_e32 vcc, 0, v6
	v_cndmask_b32_e64 v6, 0, 1, vcc
	v_lshrrev_b32_e32 v7, 8, v8
	v_and_or_b32 v9, v7, s7, v6
	v_bfe_u32 v7, v8, 20, 11
	v_sub_u32_e32 v10, 0x3f1, v7
	v_or_b32_e32 v6, 0x1000, v9
	v_med3_i32 v10, v10, 0, 13
	v_lshrrev_b32_e32 v12, v10, v6
	v_lshlrev_b32_e32 v10, v10, v12
	v_mul_f16_sdwa v2, v37, v2 dst_sel:DWORD dst_unused:UNUSED_PAD src0_sel:WORD_1 src1_sel:DWORD
	v_cmp_ne_u32_e32 vcc, v10, v6
	v_fma_f16 v2, v37, v11, -v2
	v_cndmask_b32_e64 v6, 0, 1, vcc
	v_add_u32_e32 v10, 0xfffffc10, v7
	v_cvt_f32_f16_e32 v2, v2
	v_or_b32_e32 v6, v12, v6
	v_lshl_or_b32 v7, v10, 12, v9
	v_cmp_gt_i32_e32 vcc, 1, v10
	v_cndmask_b32_e32 v6, v7, v6, vcc
	v_and_b32_e32 v7, 7, v6
	v_cmp_lt_i32_e32 vcc, 5, v7
	v_cmp_eq_u32_e64 s[0:1], 3, v7
	v_lshrrev_b32_e32 v11, 2, v6
	v_cvt_f64_f32_e32 v[6:7], v2
	s_or_b64 vcc, s[0:1], vcc
	v_addc_co_u32_e32 v2, vcc, 0, v11, vcc
	v_mul_f64 v[6:7], v[6:7], s[4:5]
	v_cmp_gt_i32_e32 vcc, 31, v10
	v_cndmask_b32_e32 v2, v0, v2, vcc
	v_cmp_ne_u32_e32 vcc, 0, v9
	v_cndmask_b32_e64 v9, 0, 1, vcc
	v_lshl_or_b32 v9, v9, 9, v0
	v_cmp_eq_u32_e32 vcc, s10, v10
	v_cndmask_b32_e32 v2, v2, v9, vcc
	v_and_or_b32 v6, v7, s6, v6
	v_lshrrev_b32_e32 v8, 16, v8
	v_cmp_ne_u32_e32 vcc, 0, v6
	v_and_or_b32 v2, v8, s11, v2
	v_cndmask_b32_e64 v6, 0, 1, vcc
	v_lshrrev_b32_e32 v8, 8, v7
	v_bfe_u32 v9, v7, 20, 11
	v_and_or_b32 v6, v8, s7, v6
	v_sub_u32_e32 v10, 0x3f1, v9
	v_or_b32_e32 v8, 0x1000, v6
	v_med3_i32 v10, v10, 0, 13
	v_lshrrev_b32_e32 v11, v10, v8
	v_lshlrev_b32_e32 v10, v10, v11
	v_cmp_ne_u32_e32 vcc, v10, v8
	v_cndmask_b32_e64 v8, 0, 1, vcc
	v_add_u32_e32 v9, 0xfffffc10, v9
	v_or_b32_e32 v8, v11, v8
	v_lshl_or_b32 v10, v9, 12, v6
	v_cmp_gt_i32_e32 vcc, 1, v9
	v_cndmask_b32_e32 v8, v10, v8, vcc
	v_and_b32_e32 v10, 7, v8
	v_cmp_lt_i32_e32 vcc, 5, v10
	v_cmp_eq_u32_e64 s[0:1], 3, v10
	v_lshrrev_b32_e32 v10, 16, v3
	v_lshrrev_b32_e32 v8, 2, v8
	s_or_b64 vcc, s[0:1], vcc
	v_mul_f16_sdwa v11, v36, v10 dst_sel:DWORD dst_unused:UNUSED_PAD src0_sel:WORD_1 src1_sel:DWORD
	v_addc_co_u32_e32 v8, vcc, 0, v8, vcc
	v_fma_f16 v11, v36, v3, v11
	v_cmp_gt_i32_e32 vcc, 31, v9
	v_cvt_f32_f16_e32 v11, v11
	v_cndmask_b32_e32 v8, v0, v8, vcc
	v_cmp_ne_u32_e32 vcc, 0, v6
	v_cndmask_b32_e64 v6, 0, 1, vcc
	v_lshl_or_b32 v6, v6, 9, v0
	v_cmp_eq_u32_e32 vcc, s10, v9
	v_cndmask_b32_e32 v6, v8, v6, vcc
	v_cvt_f64_f32_e32 v[8:9], v11
	v_lshrrev_b32_e32 v7, 16, v7
	v_and_or_b32 v11, v7, s11, v6
	v_and_b32_e32 v2, 0xffff, v2
	v_mul_f64 v[6:7], v[8:9], s[4:5]
	v_mov_b32_e32 v8, s2
	v_add_co_u32_e32 v4, vcc, s3, v4
	v_lshl_or_b32 v2, v11, 16, v2
	v_addc_co_u32_e32 v5, vcc, v5, v8, vcc
	global_store_dword v[4:5], v2, off
	v_and_or_b32 v2, v7, s6, v6
	v_cmp_ne_u32_e32 vcc, 0, v2
	v_cndmask_b32_e64 v2, 0, 1, vcc
	v_lshrrev_b32_e32 v6, 8, v7
	v_bfe_u32 v8, v7, 20, 11
	v_and_or_b32 v6, v6, s7, v2
	v_sub_u32_e32 v9, 0x3f1, v8
	v_or_b32_e32 v2, 0x1000, v6
	v_med3_i32 v9, v9, 0, 13
	v_lshrrev_b32_e32 v11, v9, v2
	v_lshlrev_b32_e32 v9, v9, v11
	v_mul_f16_sdwa v3, v36, v3 dst_sel:DWORD dst_unused:UNUSED_PAD src0_sel:WORD_1 src1_sel:DWORD
	v_cmp_ne_u32_e32 vcc, v9, v2
	v_fma_f16 v3, v36, v10, -v3
	v_cndmask_b32_e64 v2, 0, 1, vcc
	v_add_u32_e32 v8, 0xfffffc10, v8
	v_cvt_f32_f16_e32 v3, v3
	v_or_b32_e32 v2, v11, v2
	v_lshl_or_b32 v9, v8, 12, v6
	v_cmp_gt_i32_e32 vcc, 1, v8
	v_cndmask_b32_e32 v2, v9, v2, vcc
	v_and_b32_e32 v9, 7, v2
	v_cmp_lt_i32_e32 vcc, 5, v9
	v_cmp_eq_u32_e64 s[0:1], 3, v9
	v_lshrrev_b32_e32 v9, 2, v2
	v_cvt_f64_f32_e32 v[2:3], v3
	s_or_b64 vcc, s[0:1], vcc
	v_addc_co_u32_e32 v9, vcc, 0, v9, vcc
	v_mul_f64 v[2:3], v[2:3], s[4:5]
	v_cmp_gt_i32_e32 vcc, 31, v8
	v_cndmask_b32_e32 v9, v0, v9, vcc
	v_cmp_ne_u32_e32 vcc, 0, v6
	v_cndmask_b32_e64 v6, 0, 1, vcc
	v_lshl_or_b32 v6, v6, 9, v0
	v_cmp_eq_u32_e32 vcc, s10, v8
	v_cndmask_b32_e32 v6, v9, v6, vcc
	v_and_or_b32 v2, v3, s6, v2
	v_lshrrev_b32_e32 v7, 16, v7
	v_cmp_ne_u32_e32 vcc, 0, v2
	v_and_or_b32 v8, v7, s11, v6
	v_cndmask_b32_e64 v2, 0, 1, vcc
	v_lshrrev_b32_e32 v6, 8, v3
	v_bfe_u32 v7, v3, 20, 11
	v_and_or_b32 v6, v6, s7, v2
	v_sub_u32_e32 v9, 0x3f1, v7
	v_or_b32_e32 v2, 0x1000, v6
	v_med3_i32 v9, v9, 0, 13
	v_lshrrev_b32_e32 v10, v9, v2
	v_lshlrev_b32_e32 v9, v9, v10
	v_cmp_ne_u32_e32 vcc, v9, v2
	v_cndmask_b32_e64 v2, 0, 1, vcc
	v_add_u32_e32 v7, 0xfffffc10, v7
	v_or_b32_e32 v2, v10, v2
	v_lshl_or_b32 v9, v7, 12, v6
	v_cmp_gt_i32_e32 vcc, 1, v7
	v_cndmask_b32_e32 v2, v9, v2, vcc
	v_and_b32_e32 v9, 7, v2
	v_cmp_lt_i32_e32 vcc, 5, v9
	v_cmp_eq_u32_e64 s[0:1], 3, v9
	v_lshrrev_b32_e32 v2, 2, v2
	s_or_b64 vcc, s[0:1], vcc
	v_addc_co_u32_e32 v9, vcc, 0, v2, vcc
	ds_read2_b32 v[1:2], v1 offset0:82 offset1:181
	v_cmp_gt_i32_e32 vcc, 31, v7
	v_cndmask_b32_e32 v9, v0, v9, vcc
	v_cmp_ne_u32_e32 vcc, 0, v6
	v_cndmask_b32_e64 v6, 0, 1, vcc
	s_waitcnt lgkmcnt(0)
	v_lshrrev_b32_e32 v10, 16, v1
	v_mul_f16_sdwa v11, v35, v10 dst_sel:DWORD dst_unused:UNUSED_PAD src0_sel:WORD_1 src1_sel:DWORD
	v_fma_f16 v11, v35, v1, v11
	v_cvt_f32_f16_e32 v11, v11
	v_lshl_or_b32 v6, v6, 9, v0
	v_cmp_eq_u32_e32 vcc, s10, v7
	v_cndmask_b32_e32 v9, v9, v6, vcc
	v_cvt_f64_f32_e32 v[6:7], v11
	v_lshrrev_b32_e32 v3, 16, v3
	v_and_or_b32 v3, v3, s11, v9
	v_and_b32_e32 v8, 0xffff, v8
	v_mul_f64 v[6:7], v[6:7], s[4:5]
	v_lshl_or_b32 v8, v3, 16, v8
	v_mov_b32_e32 v9, s2
	v_add_co_u32_e32 v3, vcc, s3, v4
	v_addc_co_u32_e32 v4, vcc, v5, v9, vcc
	global_store_dword v[3:4], v8, off
	v_and_or_b32 v5, v7, s6, v6
	v_cmp_ne_u32_e32 vcc, 0, v5
	v_cndmask_b32_e64 v5, 0, 1, vcc
	v_lshrrev_b32_e32 v6, 8, v7
	v_and_or_b32 v8, v6, s7, v5
	v_bfe_u32 v6, v7, 20, 11
	v_sub_u32_e32 v9, 0x3f1, v6
	v_or_b32_e32 v5, 0x1000, v8
	v_med3_i32 v9, v9, 0, 13
	v_lshrrev_b32_e32 v11, v9, v5
	v_lshlrev_b32_e32 v9, v9, v11
	v_mul_f16_sdwa v1, v35, v1 dst_sel:DWORD dst_unused:UNUSED_PAD src0_sel:WORD_1 src1_sel:DWORD
	v_cmp_ne_u32_e32 vcc, v9, v5
	v_fma_f16 v1, v35, v10, -v1
	v_cndmask_b32_e64 v5, 0, 1, vcc
	v_add_u32_e32 v9, 0xfffffc10, v6
	v_cvt_f32_f16_e32 v1, v1
	v_or_b32_e32 v5, v11, v5
	v_lshl_or_b32 v6, v9, 12, v8
	v_cmp_gt_i32_e32 vcc, 1, v9
	v_cndmask_b32_e32 v5, v6, v5, vcc
	v_and_b32_e32 v6, 7, v5
	v_cmp_lt_i32_e32 vcc, 5, v6
	v_cmp_eq_u32_e64 s[0:1], 3, v6
	v_lshrrev_b32_e32 v10, 2, v5
	v_cvt_f64_f32_e32 v[5:6], v1
	s_or_b64 vcc, s[0:1], vcc
	v_addc_co_u32_e32 v1, vcc, 0, v10, vcc
	v_mul_f64 v[5:6], v[5:6], s[4:5]
	v_cmp_gt_i32_e32 vcc, 31, v9
	v_cndmask_b32_e32 v1, v0, v1, vcc
	v_cmp_ne_u32_e32 vcc, 0, v8
	v_cndmask_b32_e64 v8, 0, 1, vcc
	v_lshl_or_b32 v8, v8, 9, v0
	v_cmp_eq_u32_e32 vcc, s10, v9
	v_cndmask_b32_e32 v1, v1, v8, vcc
	v_and_or_b32 v5, v6, s6, v5
	v_lshrrev_b32_e32 v7, 16, v7
	v_cmp_ne_u32_e32 vcc, 0, v5
	v_and_or_b32 v1, v7, s11, v1
	v_cndmask_b32_e64 v5, 0, 1, vcc
	v_lshrrev_b32_e32 v7, 8, v6
	v_bfe_u32 v8, v6, 20, 11
	v_and_or_b32 v5, v7, s7, v5
	v_sub_u32_e32 v9, 0x3f1, v8
	v_or_b32_e32 v7, 0x1000, v5
	v_med3_i32 v9, v9, 0, 13
	v_lshrrev_b32_e32 v10, v9, v7
	v_lshlrev_b32_e32 v9, v9, v10
	v_cmp_ne_u32_e32 vcc, v9, v7
	v_cndmask_b32_e64 v7, 0, 1, vcc
	v_add_u32_e32 v8, 0xfffffc10, v8
	v_or_b32_e32 v7, v10, v7
	v_lshl_or_b32 v9, v8, 12, v5
	v_cmp_gt_i32_e32 vcc, 1, v8
	v_cndmask_b32_e32 v7, v9, v7, vcc
	v_and_b32_e32 v9, 7, v7
	v_cmp_lt_i32_e32 vcc, 5, v9
	v_cmp_eq_u32_e64 s[0:1], 3, v9
	v_lshrrev_b32_e32 v9, 16, v2
	v_lshrrev_b32_e32 v7, 2, v7
	s_or_b64 vcc, s[0:1], vcc
	v_mul_f16_sdwa v10, v34, v9 dst_sel:DWORD dst_unused:UNUSED_PAD src0_sel:WORD_1 src1_sel:DWORD
	v_addc_co_u32_e32 v7, vcc, 0, v7, vcc
	v_fma_f16 v10, v34, v2, v10
	v_cmp_gt_i32_e32 vcc, 31, v8
	v_cvt_f32_f16_e32 v10, v10
	v_cndmask_b32_e32 v7, v0, v7, vcc
	v_cmp_ne_u32_e32 vcc, 0, v5
	v_cndmask_b32_e64 v5, 0, 1, vcc
	v_lshl_or_b32 v5, v5, 9, v0
	v_cmp_eq_u32_e32 vcc, s10, v8
	v_cndmask_b32_e32 v5, v7, v5, vcc
	v_cvt_f64_f32_e32 v[7:8], v10
	v_lshrrev_b32_e32 v6, 16, v6
	v_and_or_b32 v10, v6, s11, v5
	v_and_b32_e32 v1, 0xffff, v1
	v_mul_f64 v[5:6], v[7:8], s[4:5]
	v_mov_b32_e32 v7, s2
	v_add_co_u32_e32 v3, vcc, s3, v3
	v_lshl_or_b32 v1, v10, 16, v1
	v_addc_co_u32_e32 v4, vcc, v4, v7, vcc
	global_store_dword v[3:4], v1, off
	v_and_or_b32 v1, v6, s6, v5
	v_cmp_ne_u32_e32 vcc, 0, v1
	v_cndmask_b32_e64 v1, 0, 1, vcc
	v_lshrrev_b32_e32 v5, 8, v6
	v_bfe_u32 v7, v6, 20, 11
	v_and_or_b32 v5, v5, s7, v1
	v_sub_u32_e32 v8, 0x3f1, v7
	v_or_b32_e32 v1, 0x1000, v5
	v_med3_i32 v8, v8, 0, 13
	v_lshrrev_b32_e32 v10, v8, v1
	v_lshlrev_b32_e32 v8, v8, v10
	v_mul_f16_sdwa v2, v34, v2 dst_sel:DWORD dst_unused:UNUSED_PAD src0_sel:WORD_1 src1_sel:DWORD
	v_cmp_ne_u32_e32 vcc, v8, v1
	v_fma_f16 v2, v34, v9, -v2
	v_cndmask_b32_e64 v1, 0, 1, vcc
	v_add_u32_e32 v7, 0xfffffc10, v7
	v_cvt_f32_f16_e32 v2, v2
	v_or_b32_e32 v1, v10, v1
	v_lshl_or_b32 v8, v7, 12, v5
	v_cmp_gt_i32_e32 vcc, 1, v7
	v_cndmask_b32_e32 v1, v8, v1, vcc
	v_and_b32_e32 v8, 7, v1
	v_cmp_lt_i32_e32 vcc, 5, v8
	v_cmp_eq_u32_e64 s[0:1], 3, v8
	v_lshrrev_b32_e32 v8, 2, v1
	v_cvt_f64_f32_e32 v[1:2], v2
	s_or_b64 vcc, s[0:1], vcc
	v_addc_co_u32_e32 v8, vcc, 0, v8, vcc
	v_mul_f64 v[1:2], v[1:2], s[4:5]
	v_cmp_gt_i32_e32 vcc, 31, v7
	v_cndmask_b32_e32 v8, v0, v8, vcc
	v_cmp_ne_u32_e32 vcc, 0, v5
	v_cndmask_b32_e64 v5, 0, 1, vcc
	v_lshl_or_b32 v5, v5, 9, v0
	v_cmp_eq_u32_e32 vcc, s10, v7
	v_cndmask_b32_e32 v5, v8, v5, vcc
	v_and_or_b32 v1, v2, s6, v1
	v_lshrrev_b32_e32 v6, 16, v6
	v_cmp_ne_u32_e32 vcc, 0, v1
	v_and_or_b32 v7, v6, s11, v5
	v_cndmask_b32_e64 v1, 0, 1, vcc
	v_lshrrev_b32_e32 v5, 8, v2
	v_bfe_u32 v6, v2, 20, 11
	v_and_or_b32 v1, v5, s7, v1
	v_sub_u32_e32 v8, 0x3f1, v6
	v_or_b32_e32 v5, 0x1000, v1
	v_med3_i32 v8, v8, 0, 13
	v_lshrrev_b32_e32 v9, v8, v5
	v_lshlrev_b32_e32 v8, v8, v9
	v_cmp_ne_u32_e32 vcc, v8, v5
	v_cndmask_b32_e64 v5, 0, 1, vcc
	v_add_u32_e32 v6, 0xfffffc10, v6
	v_or_b32_e32 v5, v9, v5
	v_lshl_or_b32 v8, v6, 12, v1
	v_cmp_gt_i32_e32 vcc, 1, v6
	v_cndmask_b32_e32 v5, v8, v5, vcc
	v_and_b32_e32 v8, 7, v5
	v_cmp_lt_i32_e32 vcc, 5, v8
	v_cmp_eq_u32_e64 s[0:1], 3, v8
	ds_read_b32 v8, v33 offset:3168
	v_lshrrev_b32_e32 v5, 2, v5
	s_or_b64 vcc, s[0:1], vcc
	v_addc_co_u32_e32 v5, vcc, 0, v5, vcc
	s_waitcnt lgkmcnt(0)
	v_lshrrev_b32_e32 v9, 16, v8
	v_mul_f16_sdwa v10, v32, v9 dst_sel:DWORD dst_unused:UNUSED_PAD src0_sel:WORD_1 src1_sel:DWORD
	v_fma_f16 v10, v32, v8, v10
	v_cmp_gt_i32_e32 vcc, 31, v6
	v_cvt_f32_f16_e32 v10, v10
	v_cndmask_b32_e32 v5, v0, v5, vcc
	v_cmp_ne_u32_e32 vcc, 0, v1
	v_cndmask_b32_e64 v1, 0, 1, vcc
	v_lshl_or_b32 v1, v1, 9, v0
	v_cmp_eq_u32_e32 vcc, s10, v6
	v_cndmask_b32_e32 v1, v5, v1, vcc
	v_cvt_f64_f32_e32 v[5:6], v10
	v_lshrrev_b32_e32 v2, 16, v2
	v_and_or_b32 v10, v2, s11, v1
	v_add_co_u32_e32 v3, vcc, s3, v3
	v_mul_f64 v[1:2], v[5:6], s[4:5]
	v_mov_b32_e32 v6, s2
	v_and_b32_e32 v7, 0xffff, v7
	v_addc_co_u32_e32 v4, vcc, v4, v6, vcc
	v_lshl_or_b32 v5, v10, 16, v7
	global_store_dword v[3:4], v5, off
	v_mul_f16_sdwa v8, v32, v8 dst_sel:DWORD dst_unused:UNUSED_PAD src0_sel:WORD_1 src1_sel:DWORD
	v_and_or_b32 v1, v2, s6, v1
	v_cmp_ne_u32_e32 vcc, 0, v1
	v_cndmask_b32_e64 v1, 0, 1, vcc
	v_lshrrev_b32_e32 v5, 8, v2
	v_bfe_u32 v6, v2, 20, 11
	v_and_or_b32 v1, v5, s7, v1
	v_sub_u32_e32 v7, 0x3f1, v6
	v_or_b32_e32 v5, 0x1000, v1
	v_med3_i32 v7, v7, 0, 13
	v_lshrrev_b32_e32 v10, v7, v5
	v_lshlrev_b32_e32 v7, v7, v10
	v_cmp_ne_u32_e32 vcc, v7, v5
	v_fma_f16 v8, v32, v9, -v8
	v_cndmask_b32_e64 v5, 0, 1, vcc
	v_add_u32_e32 v7, 0xfffffc10, v6
	v_cvt_f32_f16_e32 v8, v8
	v_or_b32_e32 v5, v10, v5
	v_lshl_or_b32 v6, v7, 12, v1
	v_cmp_gt_i32_e32 vcc, 1, v7
	v_cndmask_b32_e32 v5, v6, v5, vcc
	v_and_b32_e32 v6, 7, v5
	v_cmp_lt_i32_e32 vcc, 5, v6
	v_cmp_eq_u32_e64 s[0:1], 3, v6
	v_lshrrev_b32_e32 v9, 2, v5
	v_cvt_f64_f32_e32 v[5:6], v8
	s_or_b64 vcc, s[0:1], vcc
	v_addc_co_u32_e32 v8, vcc, 0, v9, vcc
	v_mul_f64 v[5:6], v[5:6], s[4:5]
	v_cmp_gt_i32_e32 vcc, 31, v7
	v_cndmask_b32_e32 v8, v0, v8, vcc
	v_cmp_ne_u32_e32 vcc, 0, v1
	v_cndmask_b32_e64 v1, 0, 1, vcc
	v_lshl_or_b32 v1, v1, 9, v0
	v_cmp_eq_u32_e32 vcc, s10, v7
	v_cndmask_b32_e32 v1, v8, v1, vcc
	v_lshrrev_b32_e32 v2, 16, v2
	v_and_or_b32 v1, v2, s11, v1
	v_and_or_b32 v2, v6, s6, v5
	v_cmp_ne_u32_e32 vcc, 0, v2
	v_cndmask_b32_e64 v2, 0, 1, vcc
	v_lshrrev_b32_e32 v5, 8, v6
	v_bfe_u32 v7, v6, 20, 11
	v_and_or_b32 v2, v5, s7, v2
	v_sub_u32_e32 v8, 0x3f1, v7
	v_or_b32_e32 v5, 0x1000, v2
	v_med3_i32 v8, v8, 0, 13
	v_lshrrev_b32_e32 v9, v8, v5
	v_lshlrev_b32_e32 v8, v8, v9
	v_cmp_ne_u32_e32 vcc, v8, v5
	v_cndmask_b32_e64 v5, 0, 1, vcc
	v_add_u32_e32 v7, 0xfffffc10, v7
	v_or_b32_e32 v5, v9, v5
	v_lshl_or_b32 v8, v7, 12, v2
	v_cmp_gt_i32_e32 vcc, 1, v7
	v_cndmask_b32_e32 v5, v8, v5, vcc
	v_and_b32_e32 v8, 7, v5
	v_cmp_lt_i32_e32 vcc, 5, v8
	v_cmp_eq_u32_e64 s[0:1], 3, v8
	v_lshrrev_b32_e32 v5, 2, v5
	s_or_b64 vcc, s[0:1], vcc
	v_addc_co_u32_e32 v5, vcc, 0, v5, vcc
	v_cmp_gt_i32_e32 vcc, 31, v7
	v_cndmask_b32_e32 v5, v0, v5, vcc
	v_cmp_ne_u32_e32 vcc, 0, v2
	v_cndmask_b32_e64 v2, 0, 1, vcc
	v_lshl_or_b32 v0, v2, 9, v0
	v_cmp_eq_u32_e32 vcc, s10, v7
	v_cndmask_b32_e32 v0, v5, v0, vcc
	v_lshrrev_b32_e32 v2, 16, v6
	v_and_or_b32 v0, v2, s11, v0
	v_and_b32_e32 v1, 0xffff, v1
	v_lshl_or_b32 v2, v0, 16, v1
	v_mov_b32_e32 v1, s2
	v_add_co_u32_e32 v0, vcc, s3, v3
	v_addc_co_u32_e32 v1, vcc, v4, v1, vcc
	global_store_dword v[0:1], v2, off
.LBB0_10:
	s_endpgm
	.section	.rodata,"a",@progbits
	.p2align	6, 0x0
	.amdhsa_kernel bluestein_single_fwd_len891_dim1_half_op_CI_CI
		.amdhsa_group_segment_fixed_size 7128
		.amdhsa_private_segment_fixed_size 0
		.amdhsa_kernarg_size 104
		.amdhsa_user_sgpr_count 6
		.amdhsa_user_sgpr_private_segment_buffer 1
		.amdhsa_user_sgpr_dispatch_ptr 0
		.amdhsa_user_sgpr_queue_ptr 0
		.amdhsa_user_sgpr_kernarg_segment_ptr 1
		.amdhsa_user_sgpr_dispatch_id 0
		.amdhsa_user_sgpr_flat_scratch_init 0
		.amdhsa_user_sgpr_private_segment_size 0
		.amdhsa_uses_dynamic_stack 0
		.amdhsa_system_sgpr_private_segment_wavefront_offset 0
		.amdhsa_system_sgpr_workgroup_id_x 1
		.amdhsa_system_sgpr_workgroup_id_y 0
		.amdhsa_system_sgpr_workgroup_id_z 0
		.amdhsa_system_sgpr_workgroup_info 0
		.amdhsa_system_vgpr_workitem_id 0
		.amdhsa_next_free_vgpr 141
		.amdhsa_next_free_sgpr 29
		.amdhsa_reserve_vcc 1
		.amdhsa_reserve_flat_scratch 0
		.amdhsa_float_round_mode_32 0
		.amdhsa_float_round_mode_16_64 0
		.amdhsa_float_denorm_mode_32 3
		.amdhsa_float_denorm_mode_16_64 3
		.amdhsa_dx10_clamp 1
		.amdhsa_ieee_mode 1
		.amdhsa_fp16_overflow 0
		.amdhsa_exception_fp_ieee_invalid_op 0
		.amdhsa_exception_fp_denorm_src 0
		.amdhsa_exception_fp_ieee_div_zero 0
		.amdhsa_exception_fp_ieee_overflow 0
		.amdhsa_exception_fp_ieee_underflow 0
		.amdhsa_exception_fp_ieee_inexact 0
		.amdhsa_exception_int_div_zero 0
	.end_amdhsa_kernel
	.text
.Lfunc_end0:
	.size	bluestein_single_fwd_len891_dim1_half_op_CI_CI, .Lfunc_end0-bluestein_single_fwd_len891_dim1_half_op_CI_CI
                                        ; -- End function
	.section	.AMDGPU.csdata,"",@progbits
; Kernel info:
; codeLenInByte = 15964
; NumSgprs: 33
; NumVgprs: 141
; ScratchSize: 0
; MemoryBound: 0
; FloatMode: 240
; IeeeMode: 1
; LDSByteSize: 7128 bytes/workgroup (compile time only)
; SGPRBlocks: 4
; VGPRBlocks: 35
; NumSGPRsForWavesPerEU: 33
; NumVGPRsForWavesPerEU: 141
; Occupancy: 1
; WaveLimiterHint : 1
; COMPUTE_PGM_RSRC2:SCRATCH_EN: 0
; COMPUTE_PGM_RSRC2:USER_SGPR: 6
; COMPUTE_PGM_RSRC2:TRAP_HANDLER: 0
; COMPUTE_PGM_RSRC2:TGID_X_EN: 1
; COMPUTE_PGM_RSRC2:TGID_Y_EN: 0
; COMPUTE_PGM_RSRC2:TGID_Z_EN: 0
; COMPUTE_PGM_RSRC2:TIDIG_COMP_CNT: 0
	.type	__hip_cuid_18745b97d9f05269,@object ; @__hip_cuid_18745b97d9f05269
	.section	.bss,"aw",@nobits
	.globl	__hip_cuid_18745b97d9f05269
__hip_cuid_18745b97d9f05269:
	.byte	0                               ; 0x0
	.size	__hip_cuid_18745b97d9f05269, 1

	.ident	"AMD clang version 19.0.0git (https://github.com/RadeonOpenCompute/llvm-project roc-6.4.0 25133 c7fe45cf4b819c5991fe208aaa96edf142730f1d)"
	.section	".note.GNU-stack","",@progbits
	.addrsig
	.addrsig_sym __hip_cuid_18745b97d9f05269
	.amdgpu_metadata
---
amdhsa.kernels:
  - .args:
      - .actual_access:  read_only
        .address_space:  global
        .offset:         0
        .size:           8
        .value_kind:     global_buffer
      - .actual_access:  read_only
        .address_space:  global
        .offset:         8
        .size:           8
        .value_kind:     global_buffer
      - .actual_access:  read_only
        .address_space:  global
        .offset:         16
        .size:           8
        .value_kind:     global_buffer
      - .actual_access:  read_only
        .address_space:  global
        .offset:         24
        .size:           8
        .value_kind:     global_buffer
      - .actual_access:  read_only
        .address_space:  global
        .offset:         32
        .size:           8
        .value_kind:     global_buffer
      - .offset:         40
        .size:           8
        .value_kind:     by_value
      - .address_space:  global
        .offset:         48
        .size:           8
        .value_kind:     global_buffer
      - .address_space:  global
        .offset:         56
        .size:           8
        .value_kind:     global_buffer
      - .address_space:  global
        .offset:         64
        .size:           8
        .value_kind:     global_buffer
      - .address_space:  global
        .offset:         72
        .size:           8
        .value_kind:     global_buffer
      - .offset:         80
        .size:           4
        .value_kind:     by_value
      - .address_space:  global
        .offset:         88
        .size:           8
        .value_kind:     global_buffer
      - .address_space:  global
        .offset:         96
        .size:           8
        .value_kind:     global_buffer
    .group_segment_fixed_size: 7128
    .kernarg_segment_align: 8
    .kernarg_segment_size: 104
    .language:       OpenCL C
    .language_version:
      - 2
      - 0
    .max_flat_workgroup_size: 198
    .name:           bluestein_single_fwd_len891_dim1_half_op_CI_CI
    .private_segment_fixed_size: 0
    .sgpr_count:     33
    .sgpr_spill_count: 0
    .symbol:         bluestein_single_fwd_len891_dim1_half_op_CI_CI.kd
    .uniform_work_group_size: 1
    .uses_dynamic_stack: false
    .vgpr_count:     141
    .vgpr_spill_count: 0
    .wavefront_size: 64
amdhsa.target:   amdgcn-amd-amdhsa--gfx906
amdhsa.version:
  - 1
  - 2
...

	.end_amdgpu_metadata
